;; amdgpu-corpus repo=ROCm/rocFFT kind=compiled arch=gfx1201 opt=O3
	.text
	.amdgcn_target "amdgcn-amd-amdhsa--gfx1201"
	.amdhsa_code_object_version 6
	.protected	bluestein_single_back_len1547_dim1_half_op_CI_CI ; -- Begin function bluestein_single_back_len1547_dim1_half_op_CI_CI
	.globl	bluestein_single_back_len1547_dim1_half_op_CI_CI
	.p2align	8
	.type	bluestein_single_back_len1547_dim1_half_op_CI_CI,@function
bluestein_single_back_len1547_dim1_half_op_CI_CI: ; @bluestein_single_back_len1547_dim1_half_op_CI_CI
; %bb.0:
	s_load_b128 s[4:7], s[0:1], 0x28
	v_mul_u32_u24_e32 v1, 0x227, v0
	s_mov_b32 s2, exec_lo
	v_mov_b32_e32 v21, 0
	s_delay_alu instid0(VALU_DEP_2) | instskip(NEXT) | instid1(VALU_DEP_1)
	v_lshrrev_b32_e32 v1, 16, v1
	v_add_nc_u32_e32 v20, ttmp9, v1
	s_wait_kmcnt 0x0
	s_delay_alu instid0(VALU_DEP_1)
	v_cmpx_gt_u64_e64 s[4:5], v[20:21]
	s_cbranch_execz .LBB0_23
; %bb.1:
	s_clause 0x1
	s_load_b64 s[12:13], s[0:1], 0x0
	s_load_b64 s[14:15], s[0:1], 0x38
	v_mul_lo_u16 v1, 0x77, v1
	s_delay_alu instid0(VALU_DEP_1) | instskip(NEXT) | instid1(VALU_DEP_1)
	v_sub_nc_u16 v0, v0, v1
	v_and_b32_e32 v48, 0xffff, v0
	v_cmp_gt_u16_e32 vcc_lo, 0x5b, v0
	s_delay_alu instid0(VALU_DEP_2)
	v_lshlrev_b32_e32 v47, 2, v48
	s_and_saveexec_b32 s3, vcc_lo
	s_cbranch_execz .LBB0_3
; %bb.2:
	s_load_b64 s[4:5], s[0:1], 0x18
	s_delay_alu instid0(VALU_DEP_1)
	v_add_nc_u32_e32 v37, 0x800, v47
	v_add_nc_u32_e32 v39, 0xc00, v47
	;; [unrolled: 1-line block ×3, first 2 shown]
	s_wait_kmcnt 0x0
	s_load_b128 s[8:11], s[4:5], 0x0
	s_wait_kmcnt 0x0
	v_mad_co_u64_u32 v[0:1], null, s10, v20, 0
	v_mad_co_u64_u32 v[2:3], null, s8, v48, 0
	s_mul_u64 s[4:5], s[8:9], 0x16c
	s_delay_alu instid0(VALU_DEP_1) | instskip(NEXT) | instid1(VALU_DEP_2)
	v_mad_co_u64_u32 v[4:5], null, s11, v20, v[1:2]
	v_mov_b32_e32 v1, v3
	s_delay_alu instid0(VALU_DEP_1) | instskip(NEXT) | instid1(VALU_DEP_3)
	v_mad_co_u64_u32 v[5:6], null, s9, v48, v[1:2]
	v_mov_b32_e32 v1, v4
	s_clause 0x7
	global_load_b32 v4, v47, s[12:13]
	global_load_b32 v6, v47, s[12:13] offset:364
	global_load_b32 v7, v47, s[12:13] offset:728
	;; [unrolled: 1-line block ×7, first 2 shown]
	v_lshlrev_b64_e32 v[0:1], 2, v[0:1]
	v_mov_b32_e32 v3, v5
	s_clause 0x8
	global_load_b32 v5, v47, s[12:13] offset:2912
	global_load_b32 v13, v47, s[12:13] offset:3276
	global_load_b32 v14, v47, s[12:13] offset:3640
	global_load_b32 v15, v47, s[12:13] offset:4004
	global_load_b32 v16, v47, s[12:13] offset:4368
	global_load_b32 v17, v47, s[12:13] offset:4732
	global_load_b32 v18, v47, s[12:13] offset:5096
	global_load_b32 v19, v47, s[12:13] offset:5460
	global_load_b32 v21, v47, s[12:13] offset:5824
	v_lshlrev_b64_e32 v[2:3], 2, v[2:3]
	v_add_co_u32 v0, s2, s6, v0
	s_delay_alu instid0(VALU_DEP_1) | instskip(NEXT) | instid1(VALU_DEP_2)
	v_add_co_ci_u32_e64 v1, s2, s7, v1, s2
	v_add_co_u32 v0, s2, v0, v2
	s_wait_alu 0xf1ff
	s_delay_alu instid0(VALU_DEP_2) | instskip(SKIP_1) | instid1(VALU_DEP_2)
	v_add_co_ci_u32_e64 v1, s2, v1, v3, s2
	s_wait_alu 0xfffe
	v_add_co_u32 v2, s2, v0, s4
	s_wait_alu 0xf1ff
	s_delay_alu instid0(VALU_DEP_2)
	v_add_co_ci_u32_e64 v3, s2, s5, v1, s2
	s_clause 0x1
	global_load_b32 v22, v[0:1], off
	global_load_b32 v23, v[2:3], off
	v_add_co_u32 v0, s2, v2, s4
	s_wait_alu 0xf1ff
	v_add_co_ci_u32_e64 v1, s2, s5, v3, s2
	s_delay_alu instid0(VALU_DEP_2) | instskip(SKIP_1) | instid1(VALU_DEP_2)
	v_add_co_u32 v2, s2, v0, s4
	s_wait_alu 0xf1ff
	v_add_co_ci_u32_e64 v3, s2, s5, v1, s2
	s_clause 0x1
	global_load_b32 v24, v[0:1], off
	global_load_b32 v25, v[2:3], off
	v_add_co_u32 v0, s2, v2, s4
	s_wait_alu 0xf1ff
	v_add_co_ci_u32_e64 v1, s2, s5, v3, s2
	s_delay_alu instid0(VALU_DEP_2) | instskip(SKIP_1) | instid1(VALU_DEP_2)
	v_add_co_u32 v2, s2, v0, s4
	s_wait_alu 0xf1ff
	v_add_co_ci_u32_e64 v3, s2, s5, v1, s2
	global_load_b32 v26, v[0:1], off
	global_load_b32 v27, v[2:3], off
	v_add_co_u32 v0, s2, v2, s4
	s_wait_alu 0xf1ff
	v_add_co_ci_u32_e64 v1, s2, s5, v3, s2
	s_delay_alu instid0(VALU_DEP_2) | instskip(SKIP_1) | instid1(VALU_DEP_2)
	v_add_co_u32 v2, s2, v0, s4
	s_wait_alu 0xf1ff
	v_add_co_ci_u32_e64 v3, s2, s5, v1, s2
	global_load_b32 v28, v[0:1], off
	v_add_co_u32 v0, s2, v2, s4
	s_wait_alu 0xf1ff
	v_add_co_ci_u32_e64 v1, s2, s5, v3, s2
	global_load_b32 v29, v[2:3], off
	global_load_b32 v30, v[0:1], off
	v_add_co_u32 v0, s2, v0, s4
	s_wait_alu 0xf1ff
	v_add_co_ci_u32_e64 v1, s2, s5, v1, s2
	s_delay_alu instid0(VALU_DEP_2) | instskip(SKIP_1) | instid1(VALU_DEP_2)
	v_add_co_u32 v2, s2, v0, s4
	s_wait_alu 0xf1ff
	v_add_co_ci_u32_e64 v3, s2, s5, v1, s2
	global_load_b32 v31, v[0:1], off
	v_add_co_u32 v0, s2, v2, s4
	s_wait_alu 0xf1ff
	v_add_co_ci_u32_e64 v1, s2, s5, v3, s2
	global_load_b32 v32, v[2:3], off
	global_load_b32 v33, v[0:1], off
	v_add_co_u32 v0, s2, v0, s4
	s_wait_alu 0xf1ff
	v_add_co_ci_u32_e64 v1, s2, s5, v1, s2
	s_delay_alu instid0(VALU_DEP_2) | instskip(SKIP_1) | instid1(VALU_DEP_2)
	v_add_co_u32 v2, s2, v0, s4
	s_wait_alu 0xf1ff
	v_add_co_ci_u32_e64 v3, s2, s5, v1, s2
	global_load_b32 v34, v[0:1], off
	v_add_co_u32 v0, s2, v2, s4
	s_wait_alu 0xf1ff
	v_add_co_ci_u32_e64 v1, s2, s5, v3, s2
	global_load_b32 v35, v[2:3], off
	v_add_co_u32 v2, s2, v0, s4
	s_wait_alu 0xf1ff
	v_add_co_ci_u32_e64 v3, s2, s5, v1, s2
	global_load_b32 v36, v[0:1], off
	;; [unrolled: 4-line block ×3, first 2 shown]
	global_load_b32 v0, v[0:1], off
	v_add_nc_u32_e32 v1, 0x200, v47
	v_add_nc_u32_e32 v3, 0x400, v47
	s_wait_loadcnt 0x21
	v_lshrrev_b32_e32 v40, 16, v4
	s_wait_loadcnt 0x20
	v_lshrrev_b32_e32 v41, 16, v6
	s_wait_loadcnt 0x1f
	v_lshrrev_b32_e32 v42, 16, v7
	s_wait_loadcnt 0x1e
	v_lshrrev_b32_e32 v43, 16, v8
	s_wait_loadcnt 0x1d
	v_lshrrev_b32_e32 v44, 16, v9
	s_wait_loadcnt 0x1c
	v_lshrrev_b32_e32 v45, 16, v10
	s_wait_loadcnt 0x1b
	v_lshrrev_b32_e32 v46, 16, v11
	s_wait_loadcnt 0x1a
	v_lshrrev_b32_e32 v49, 16, v12
	s_wait_loadcnt 0x19
	v_lshrrev_b32_e32 v50, 16, v5
	s_wait_loadcnt 0x18
	v_lshrrev_b32_e32 v51, 16, v13
	s_wait_loadcnt 0x17
	v_lshrrev_b32_e32 v52, 16, v14
	s_wait_loadcnt 0x16
	v_lshrrev_b32_e32 v53, 16, v15
	s_wait_loadcnt 0x15
	v_lshrrev_b32_e32 v54, 16, v16
	s_wait_loadcnt 0x14
	v_lshrrev_b32_e32 v56, 16, v17
	s_wait_loadcnt 0x13
	v_lshrrev_b32_e32 v57, 16, v18
	s_wait_loadcnt 0x12
	v_lshrrev_b32_e32 v58, 16, v19
	s_wait_loadcnt 0x11
	v_lshrrev_b32_e32 v61, 16, v21
	s_wait_loadcnt 0x10
	v_lshrrev_b32_e32 v55, 16, v22
	v_mul_f16_e32 v59, v40, v22
	s_wait_loadcnt 0xf
	v_lshrrev_b32_e32 v60, 16, v23
	v_mul_f16_e32 v62, v41, v23
	v_mul_f16_e32 v40, v40, v55
	v_fma_f16 v55, v4, v55, -v59
	s_delay_alu instid0(VALU_DEP_2)
	v_fmac_f16_e32 v40, v4, v22
	v_mul_f16_e32 v4, v41, v60
	v_fma_f16 v41, v6, v60, -v62
	s_wait_loadcnt 0xe
	v_lshrrev_b32_e32 v22, 16, v24
	v_mul_f16_e32 v59, v42, v24
	v_fmac_f16_e32 v4, v6, v23
	s_wait_loadcnt 0xd
	v_lshrrev_b32_e32 v23, 16, v25
	v_pack_b32_f16 v40, v40, v55
	v_mul_f16_e32 v6, v42, v22
	v_mul_f16_e32 v42, v43, v25
	v_fma_f16 v22, v7, v22, -v59
	v_pack_b32_f16 v4, v4, v41
	s_delay_alu instid0(VALU_DEP_4)
	v_fmac_f16_e32 v6, v7, v24
	v_mul_f16_e32 v7, v43, v23
	s_wait_loadcnt 0xc
	v_lshrrev_b32_e32 v24, 16, v26
	v_fma_f16 v23, v8, v23, -v42
	v_mul_f16_e32 v41, v44, v26
	ds_store_2addr_b32 v47, v40, v4 offset1:91
	v_pack_b32_f16 v4, v6, v22
	v_fmac_f16_e32 v7, v8, v25
	v_mul_f16_e32 v6, v44, v24
	s_wait_loadcnt 0xb
	v_lshrrev_b32_e32 v8, 16, v27
	v_mul_f16_e32 v22, v45, v27
	v_fma_f16 v24, v9, v24, -v41
	v_pack_b32_f16 v7, v7, v23
	v_fmac_f16_e32 v6, v9, v26
	v_mul_f16_e32 v9, v45, v8
	v_fma_f16 v8, v10, v8, -v22
	s_wait_loadcnt 0xa
	v_lshrrev_b32_e32 v22, 16, v28
	v_mul_f16_e32 v23, v46, v28
	ds_store_2addr_b32 v1, v4, v7 offset0:54 offset1:145
	v_pack_b32_f16 v1, v6, v24
	v_fmac_f16_e32 v9, v10, v27
	v_mul_f16_e32 v4, v46, v22
	s_wait_loadcnt 0x9
	v_lshrrev_b32_e32 v6, 16, v29
	v_mul_f16_e32 v7, v49, v29
	v_fma_f16 v10, v11, v22, -v23
	v_pack_b32_f16 v8, v9, v8
	v_fmac_f16_e32 v4, v11, v28
	v_mul_f16_e32 v9, v49, v6
	v_fma_f16 v6, v12, v6, -v7
	s_wait_loadcnt 0x8
	v_lshrrev_b32_e32 v7, 16, v30
	v_mul_f16_e32 v11, v50, v30
	ds_store_2addr_b32 v3, v1, v8 offset0:108 offset1:199
	;; [unrolled: 15-line block ×3, first 2 shown]
	v_fmac_f16_e32 v5, v13, v31
	s_wait_loadcnt 0x5
	v_lshrrev_b32_e32 v6, 16, v33
	v_pack_b32_f16 v1, v3, v7
	v_mul_f16_e32 v3, v52, v8
	v_fma_f16 v7, v14, v8, -v9
	v_mul_f16_e32 v8, v53, v33
	v_pack_b32_f16 v4, v5, v4
	v_mul_f16_e32 v5, v53, v6
	v_fmac_f16_e32 v3, v14, v32
	s_wait_loadcnt 0x4
	v_lshrrev_b32_e32 v9, 16, v34
	v_fma_f16 v6, v15, v6, -v8
	v_mul_f16_e32 v8, v54, v34
	v_fmac_f16_e32 v5, v15, v33
	s_wait_loadcnt 0x3
	v_lshrrev_b32_e32 v10, 16, v35
	v_pack_b32_f16 v3, v3, v7
	v_mul_f16_e32 v7, v54, v9
	v_fma_f16 v8, v16, v9, -v8
	v_mul_f16_e32 v9, v56, v35
	v_pack_b32_f16 v5, v5, v6
	v_mul_f16_e32 v6, v56, v10
	v_fmac_f16_e32 v7, v16, v34
	s_wait_loadcnt 0x2
	v_lshrrev_b32_e32 v11, 16, v36
	v_fma_f16 v9, v17, v10, -v9
	v_mul_f16_e32 v10, v57, v36
	v_fmac_f16_e32 v6, v17, v35
	s_wait_loadcnt 0x1
	v_lshrrev_b32_e32 v12, 16, v2
	s_wait_loadcnt 0x0
	v_lshrrev_b32_e32 v13, 16, v0
	v_pack_b32_f16 v7, v7, v8
	v_mul_f16_e32 v8, v57, v11
	v_fma_f16 v10, v18, v11, -v10
	v_mul_f16_e32 v11, v58, v2
	v_pack_b32_f16 v6, v6, v9
	v_mul_f16_e32 v9, v58, v12
	v_mul_f16_e32 v14, v61, v13
	;; [unrolled: 1-line block ×3, first 2 shown]
	v_fmac_f16_e32 v8, v18, v36
	v_fma_f16 v11, v19, v12, -v11
	v_fmac_f16_e32 v9, v19, v2
	v_fmac_f16_e32 v14, v21, v0
	v_fma_f16 v0, v21, v13, -v15
	v_add_nc_u32_e32 v2, 0x1000, v47
	v_pack_b32_f16 v8, v8, v10
	v_pack_b32_f16 v9, v9, v11
	v_add_nc_u32_e32 v10, 0x1200, v47
	v_pack_b32_f16 v0, v14, v0
	ds_store_2addr_b32 v38, v1, v4 offset0:88 offset1:179
	ds_store_2addr_b32 v39, v3, v5 offset0:142 offset1:233
	;; [unrolled: 1-line block ×4, first 2 shown]
	ds_store_b32 v47, v0 offset:5824
.LBB0_3:
	s_or_b32 exec_lo, exec_lo, s3
	global_wb scope:SCOPE_SE
	s_wait_dscnt 0x0
	s_wait_kmcnt 0x0
	s_barrier_signal -1
	s_barrier_wait -1
	global_inv scope:SCOPE_SE
                                        ; implicit-def: $vgpr0
                                        ; implicit-def: $vgpr6
                                        ; implicit-def: $vgpr31
                                        ; implicit-def: $vgpr4
                                        ; implicit-def: $vgpr30
                                        ; implicit-def: $vgpr29
                                        ; implicit-def: $vgpr2
                                        ; implicit-def: $vgpr26
                                        ; implicit-def: $vgpr25
                                        ; implicit-def: $vgpr23
                                        ; implicit-def: $vgpr24
                                        ; implicit-def: $vgpr32
                                        ; implicit-def: $vgpr9
                                        ; implicit-def: $vgpr33
                                        ; implicit-def: $vgpr34
                                        ; implicit-def: $vgpr11
                                        ; implicit-def: $vgpr35
                                        ; implicit-def: $vgpr36
                                        ; implicit-def: $vgpr13
                                        ; implicit-def: $vgpr37
                                        ; implicit-def: $vgpr38
                                        ; implicit-def: $vgpr15
                                        ; implicit-def: $vgpr39
                                        ; implicit-def: $vgpr40
                                        ; implicit-def: $vgpr41
	s_and_saveexec_b32 s2, vcc_lo
	s_cbranch_execz .LBB0_5
; %bb.4:
	v_add_nc_u32_e32 v2, 0x200, v47
	v_add_nc_u32_e32 v3, 0x400, v47
	;; [unrolled: 1-line block ×3, first 2 shown]
	ds_load_2addr_b32 v[0:1], v47 offset1:91
	ds_load_2addr_b32 v[14:15], v2 offset0:54 offset1:145
	v_add_nc_u32_e32 v2, 0xa00, v47
	ds_load_2addr_b32 v[12:13], v3 offset0:108 offset1:199
	v_add_nc_u32_e32 v3, 0xc00, v47
	;; [unrolled: 2-line block ×4, first 2 shown]
	ds_load_2addr_b32 v[6:7], v3 offset0:142 offset1:233
	ds_load_2addr_b32 v[4:5], v4 offset0:68 offset1:159
	;; [unrolled: 1-line block ×3, first 2 shown]
	ds_load_b32 v23, v47 offset:5824
	s_wait_dscnt 0x8
	v_lshrrev_b32_e32 v41, 16, v1
	s_wait_dscnt 0x7
	v_lshrrev_b32_e32 v40, 16, v14
	v_lshrrev_b32_e32 v39, 16, v15
	s_wait_dscnt 0x6
	v_lshrrev_b32_e32 v38, 16, v12
	;; [unrolled: 3-line block ×8, first 2 shown]
.LBB0_5:
	s_wait_alu 0xfffe
	s_or_b32 exec_lo, exec_lo, s2
	s_delay_alu instid0(VALU_DEP_1)
	v_sub_f16_e32 v49, v41, v24
	v_add_f16_e32 v67, v23, v1
	v_sub_f16_e32 v52, v40, v25
	v_add_f16_e32 v64, v3, v14
	v_sub_f16_e32 v50, v39, v26
	v_mul_f16_e32 v42, 0xb964, v49
	v_mul_f16_e32 v44, 0xbb29, v49
	;; [unrolled: 1-line block ×5, first 2 shown]
	v_fmamk_f16 v17, v67, 0x39e9, v42
	v_fmamk_f16 v18, v67, 0x3722, v44
	;; [unrolled: 1-line block ×4, first 2 shown]
	v_mul_f16_e32 v45, 0xba62, v52
	v_add_f16_e32 v17, v17, v0
	v_mul_f16_e32 v69, 0x3bb2, v52
	v_fmamk_f16 v19, v67, 0xb461, v57
	v_add_f16_e32 v18, v18, v0
	v_add_f16_e32 v21, v21, v0
	v_mul_f16_e32 v59, 0x3836, v52
	v_add_f16_e32 v17, v22, v17
	v_fmamk_f16 v22, v64, 0xb8d2, v45
	v_add_f16_e32 v68, v2, v15
	v_mul_f16_e32 v46, 0xba62, v50
	v_fmamk_f16 v51, v64, 0xb461, v69
	v_mul_f16_e32 v72, 0xb5c8, v50
	v_add_f16_e32 v19, v19, v0
	v_fmamk_f16 v28, v64, 0xbacd, v59
	v_add_f16_e32 v18, v22, v18
	v_fmamk_f16 v22, v68, 0xb8d2, v46
	v_add_f16_e32 v21, v51, v21
	v_mul_f16_e32 v63, 0x3964, v50
	v_sub_f16_e32 v51, v38, v29
	v_fmamk_f16 v53, v68, 0x3b76, v72
	v_add_f16_e32 v19, v28, v19
	v_mul_f16_e32 v54, 0x31e1, v50
	v_add_f16_e32 v17, v22, v17
	v_fmamk_f16 v22, v68, 0x39e9, v63
	v_add_f16_e32 v73, v5, v12
	v_mul_f16_e32 v55, 0xb1e1, v51
	v_add_f16_e32 v21, v53, v21
	v_sub_f16_e32 v53, v37, v30
	v_mul_f16_e32 v80, 0xb836, v51
	v_fmamk_f16 v28, v68, 0xbbdd, v54
	v_add_f16_e32 v19, v22, v19
	v_mul_f16_e32 v58, 0x3bb2, v51
	v_mul_f16_e32 v70, 0xbb29, v51
	v_fmamk_f16 v22, v73, 0xbbdd, v55
	v_add_f16_e32 v77, v4, v13
	v_mul_f16_e32 v56, 0x3836, v53
	v_fmamk_f16 v62, v73, 0xbacd, v80
	v_add_f16_e32 v18, v28, v18
	v_fmamk_f16 v28, v73, 0xb461, v58
	v_fmamk_f16 v60, v73, 0x3722, v70
	v_add_f16_e32 v17, v22, v17
	v_fmamk_f16 v22, v77, 0xbacd, v56
	v_add_f16_e32 v21, v62, v21
	v_mul_f16_e32 v62, 0x3964, v53
	v_sub_f16_e32 v75, v36, v32
	v_add_f16_e32 v18, v28, v18
	v_add_f16_e32 v19, v60, v19
	v_mul_f16_e32 v76, 0xb1e1, v53
	v_mul_f16_e32 v82, 0x3bf7, v53
	v_add_f16_e32 v17, v22, v17
	v_fmamk_f16 v22, v77, 0x39e9, v62
	v_add_f16_e32 v79, v7, v10
	v_mul_f16_e32 v60, 0x3bb2, v75
	v_fmamk_f16 v28, v77, 0xbbdd, v76
	v_fmamk_f16 v65, v77, 0x2de8, v82
	v_add_f16_e32 v18, v22, v18
	v_mul_f16_e32 v66, 0xb5c8, v75
	v_fmamk_f16 v22, v79, 0xb461, v60
	v_sub_f16_e32 v81, v35, v31
	v_mul_f16_e32 v98, 0xb964, v75
	v_add_f16_e32 v19, v28, v19
	v_add_f16_e32 v21, v65, v21
	v_mul_f16_e32 v83, 0x3bf7, v75
	v_fmamk_f16 v28, v79, 0x3b76, v66
	v_add_f16_e32 v86, v6, v11
	v_mul_f16_e32 v65, 0x3b29, v81
	v_add_f16_e32 v17, v22, v17
	v_fmamk_f16 v22, v79, 0x39e9, v98
	v_mul_f16_e32 v74, 0xbbf7, v81
	v_fmamk_f16 v71, v79, 0x2de8, v83
	v_add_f16_e32 v18, v28, v18
	v_fmamk_f16 v28, v86, 0x3722, v65
	v_mul_f16_e32 v91, 0xb5c8, v81
	v_add_f16_e32 v21, v22, v21
	v_sub_f16_e32 v84, v34, v33
	v_fmamk_f16 v22, v86, 0x2de8, v74
	v_mul_f16_e32 v102, 0xb1e1, v81
	v_mul_f16_e32 v16, 0xb836, v49
	v_add_f16_e32 v19, v71, v19
	v_add_f16_e32 v17, v28, v17
	v_fmamk_f16 v28, v86, 0x3b76, v91
	v_add_f16_e32 v97, v9, v8
	v_mul_f16_e32 v71, 0x35c8, v84
	v_add_f16_e32 v18, v22, v18
	v_fmamk_f16 v22, v86, 0xbbdd, v102
	v_mul_f16_e32 v87, 0xb1e1, v49
	v_fma_f16 v27, v67, 0xbacd, -v16
	v_mul_f16_e32 v78, 0xb836, v84
	v_add_f16_e32 v19, v28, v19
	v_fmamk_f16 v28, v97, 0x3b76, v71
	v_add_f16_e32 v88, v22, v21
	v_mul_f16_e32 v89, 0x3b29, v52
	v_fma_f16 v21, v67, 0xbbdd, -v87
	v_mul_f16_e32 v90, 0x35c8, v52
	v_fmamk_f16 v85, v97, 0xbacd, v78
	v_add_f16_e32 v22, v28, v17
	v_add_f16_e32 v17, v27, v0
	v_fma_f16 v27, v64, 0x3722, -v89
	v_add_f16_e32 v28, v21, v0
	v_fma_f16 v92, v64, 0x3b76, -v90
	v_mul_f16_e32 v93, 0xbbf7, v50
	v_mul_f16_e32 v94, 0xb836, v50
	v_add_f16_e32 v21, v85, v18
	v_add_f16_e32 v17, v27, v17
	;; [unrolled: 1-line block ×3, first 2 shown]
	v_fma_f16 v27, v68, 0x2de8, -v93
	v_fma_f16 v28, v68, 0xbacd, -v94
	v_mul_f16_e32 v85, 0x3a62, v51
	v_mul_f16_e32 v92, 0x3964, v51
	;; [unrolled: 1-line block ×3, first 2 shown]
	v_add_f16_e32 v17, v27, v17
	v_add_f16_e32 v18, v28, v18
	v_fma_f16 v27, v73, 0xb8d2, -v85
	v_fma_f16 v28, v73, 0x39e9, -v92
	v_mul_f16_e32 v100, 0xba62, v53
	v_mul_f16_e32 v103, 0xb1e1, v75
	v_fmac_f16_e32 v16, 0xbacd, v67
	v_add_f16_e32 v17, v27, v17
	v_add_f16_e32 v18, v28, v18
	v_fma_f16 v27, v77, 0x3b76, -v96
	v_fma_f16 v28, v77, 0xb8d2, -v100
	v_fmac_f16_e32 v87, 0xbbdd, v67
	v_add_f16_e32 v16, v16, v0
	v_fmac_f16_e32 v89, 0x3722, v64
	v_add_f16_e32 v17, v27, v17
	v_add_f16_e32 v27, v28, v18
	v_fma_f16 v28, v79, 0xbbdd, -v103
	v_fmac_f16_e32 v90, 0x3b76, v64
	v_mul_f16_e32 v99, 0xba62, v84
	v_mul_f16_e32 v105, 0x3b29, v84
	v_add_f16_e32 v16, v89, v16
	v_add_f16_e32 v17, v28, v17
	;; [unrolled: 1-line block ×3, first 2 shown]
	v_fmac_f16_e32 v93, 0x2de8, v68
	v_fmac_f16_e32 v94, 0xbacd, v68
	v_fmamk_f16 v95, v97, 0xb8d2, v99
	v_fmamk_f16 v101, v97, 0x3722, v105
	v_add_f16_e32 v28, v90, v28
	v_mul_f16_e32 v104, 0x3b29, v75
	v_mul_f16_e32 v87, 0x3964, v81
	v_add_f16_e32 v16, v93, v16
	v_fmac_f16_e32 v85, 0xb8d2, v73
	v_add_f16_e32 v28, v94, v28
	v_fmac_f16_e32 v92, 0x39e9, v73
	v_add_f16_e32 v19, v95, v19
	v_fma_f16 v95, v79, 0x3722, -v104
	v_add_f16_e32 v18, v101, v88
	v_mul_f16_e32 v88, 0xbbb2, v81
	v_fma_f16 v89, v86, 0x39e9, -v87
	v_add_f16_e32 v16, v85, v16
	v_fmac_f16_e32 v96, 0x3b76, v77
	v_add_f16_e32 v28, v92, v28
	v_fmac_f16_e32 v100, 0xb8d2, v77
	v_add_f16_e32 v27, v95, v27
	v_fma_f16 v90, v86, 0xb461, -v88
	v_add_f16_e32 v17, v89, v17
	v_mul_f16_e32 v85, 0xbbb2, v84
	v_mul_f16_e32 v89, 0x3bf7, v84
	v_add_f16_e32 v16, v96, v16
	v_fmac_f16_e32 v103, 0xbbdd, v79
	v_add_f16_e32 v28, v100, v28
	v_fmac_f16_e32 v104, 0x3722, v79
	v_add_f16_e32 v27, v90, v27
	v_fma_f16 v90, v97, 0xb461, -v85
	v_fma_f16 v92, v97, 0x2de8, -v89
	v_add_f16_e32 v93, v103, v16
	v_fmac_f16_e32 v87, 0x39e9, v86
	v_add_f16_e32 v28, v104, v28
	v_fmac_f16_e32 v88, 0xb461, v86
	v_add_f16_e32 v16, v90, v17
	v_add_f16_e32 v17, v92, v27
	;; [unrolled: 1-line block ×3, first 2 shown]
	v_fmac_f16_e32 v85, 0xb461, v97
	v_add_f16_e32 v87, v88, v28
	v_sub_f16_e32 v88, v1, v23
	v_mul_f16_e32 v92, 0xb5c8, v49
	v_add_f16_e64 v146, v24, v41
	v_add_f16_e32 v28, v85, v27
	v_sub_f16_e32 v85, v14, v3
	v_mul_f16_e32 v94, 0xb5c8, v88
	v_fmac_f16_e32 v89, 0x2de8, v97
	v_fmamk_f16 v27, v67, 0x3b76, v92
	v_lshrrev_b32_e32 v96, 16, v0
	v_add_f16_e64 v134, v25, v40
	v_fma_f16 v90, v146, 0x3b76, -v94
	v_mul_f16_e32 v95, 0xb964, v85
	v_mul_f16_e32 v104, 0xb964, v88
	;; [unrolled: 1-line block ×3, first 2 shown]
	v_add_f16_e32 v100, v27, v0
	v_add_f16_e32 v90, v90, v96
	v_fma_f16 v103, v134, 0x39e9, -v95
	v_add_f16_e32 v27, v89, v87
	v_fma_f16 v89, v146, 0x39e9, -v104
	v_mul_f16_e32 v109, 0xbb29, v88
	v_fmamk_f16 v101, v64, 0x39e9, v93
	v_add_f16_e32 v90, v103, v90
	v_mul_f16_e32 v103, 0xbbf7, v85
	v_mul_f16_e32 v114, 0xbbf7, v49
	v_add_f16_e32 v49, v89, v96
	v_fma_f16 v89, v146, 0x3722, -v109
	v_mul_f16_e32 v111, 0xba62, v85
	v_add_f16_e32 v87, v101, v100
	v_fma_f16 v100, v134, 0x2de8, -v103
	v_fmamk_f16 v101, v67, 0x2de8, v114
	v_mul_f16_e32 v113, 0xb1e1, v52
	v_add_f16_e32 v52, v89, v96
	v_fma_f16 v89, v134, 0xb8d2, -v111
	v_mul_f16_e32 v119, 0xbbf7, v88
	v_mul_f16_e64 v132, 0xbbb2, v88
	v_add_f16_e32 v101, v101, v0
	v_fmamk_f16 v106, v64, 0xbbdd, v113
	v_add_f16_e32 v49, v100, v49
	v_add_f16_e32 v52, v89, v52
	v_fma_f16 v89, v146, 0x2de8, -v119
	v_mul_f16_e32 v120, 0xb1e1, v85
	v_mul_f16_e64 v142, 0xba62, v88
	v_fma_f16 v100, v146, 0xb461, -v132
	v_mul_f16_e64 v133, 0x3836, v85
	v_add_f16_e32 v106, v106, v101
	v_add_f16_e32 v89, v89, v96
	v_fma_f16 v101, v134, 0xbbdd, -v120
	v_fma_f16 v107, v146, 0xb8d2, -v142
	v_mul_f16_e64 v143, 0x3bb2, v85
	v_add_f16_e32 v100, v100, v96
	v_fma_f16 v108, v134, 0xbacd, -v133
	v_mul_f16_e32 v110, 0xb836, v88
	v_add_f16_e32 v107, v107, v96
	v_fma_f16 v112, v134, 0xb461, -v143
	v_add_f16_e32 v89, v101, v89
	v_add_f16_e32 v108, v108, v100
	v_fma_f16 v100, 0xbacd, v146, v110
	v_mul_f16_e32 v88, 0xb1e1, v88
	v_mul_f16_e32 v101, 0x3b29, v85
	v_fma_f16 v110, v146, 0xbacd, -v110
	v_add_f16_e32 v107, v112, v107
	v_mul_f16_e32 v85, 0x35c8, v85
	v_fma_f16 v112, 0xbbdd, v146, v88
	v_fma_f16 v115, 0x3722, v134, v101
	v_add_f16_e32 v110, v110, v96
	v_fma_f16 v101, v134, 0x3722, -v101
	v_fma_f16 v88, v146, 0xbbdd, -v88
	v_sub_f16_e32 v117, v15, v2
	v_add_f16_e32 v100, v100, v96
	v_fma_f16 v116, 0x3b76, v134, v85
	v_add_f16_e32 v110, v101, v110
	v_add_f16_e32 v88, v88, v96
	v_fma_f16 v85, v134, 0x3b76, -v85
	v_add_f16_e64 v145, v26, v39
	v_mul_f16_e32 v101, 0xbb29, v117
	v_add_f16_e32 v112, v112, v96
	v_add_f16_e32 v115, v115, v100
	v_mul_f16_e32 v100, 0xbb29, v50
	v_add_f16_e32 v85, v85, v88
	v_mul_f16_e32 v121, 0x31e1, v117
	v_fma_f16 v88, v145, 0x3722, -v101
	v_mul_f16_e32 v122, 0x3bb2, v50
	v_add_f16_e32 v116, v116, v112
	v_fmamk_f16 v118, v68, 0x3722, v100
	v_mul_f16_e32 v112, 0xba62, v117
	v_fma_f16 v50, v145, 0xbbdd, -v121
	v_mul_f16_e64 v129, 0x3bb2, v117
	v_add_f16_e32 v88, v88, v90
	v_fmamk_f16 v90, v68, 0xb461, v122
	v_add_f16_e32 v87, v118, v87
	v_fma_f16 v118, v145, 0xb8d2, -v112
	v_add_f16_e32 v50, v50, v52
	v_fma_f16 v52, v145, 0xb461, -v129
	v_mul_f16_e64 v139, 0x3964, v117
	v_mul_f16_e64 v153, 0xb5c8, v117
	v_add_f16_e32 v90, v90, v106
	v_mul_f16_e32 v106, 0xbbf7, v117
	v_add_f16_e32 v49, v118, v49
	v_add_f16_e32 v52, v52, v89
	v_fma_f16 v89, v145, 0x39e9, -v139
	v_fma_f16 v118, v145, 0x3b76, -v153
	v_mul_f16_e32 v117, 0xb836, v117
	v_fma_f16 v123, 0x2de8, v145, v106
	v_fma_f16 v106, v145, 0x2de8, -v106
	v_add_f16_e32 v89, v89, v108
	v_add_f16_e32 v108, v118, v107
	v_fma_f16 v107, 0xbacd, v145, v117
	v_add_f16_e32 v115, v123, v115
	v_sub_f16_e32 v123, v12, v5
	v_add_f16_e32 v110, v106, v110
	v_mul_f16_e32 v106, 0xbbf7, v51
	v_add_f16_e32 v116, v107, v116
	v_fma_f16 v117, v145, 0xbacd, -v117
	v_add_f16_e64 v147, v29, v38
	v_mul_f16_e32 v107, 0xbbf7, v123
	v_mul_f16_e32 v126, 0x3bb2, v123
	v_fmamk_f16 v124, v73, 0x2de8, v106
	v_mul_f16_e32 v118, 0xb1e1, v123
	v_add_f16_e32 v85, v117, v85
	v_fma_f16 v117, v147, 0x2de8, -v107
	v_mul_f16_e64 v128, 0x35c8, v51
	v_fma_f16 v51, v147, 0xb461, -v126
	v_mul_f16_e64 v137, 0x35c8, v123
	v_add_f16_e32 v87, v124, v87
	v_fma_f16 v124, v147, 0xbbdd, -v118
	v_add_f16_e32 v88, v117, v88
	v_fma_f16 v117, 0x3b76, v73, v128
	v_add_f16_e32 v50, v51, v50
	v_mul_f16_e64 v149, 0xbb29, v123
	v_fma_f16 v51, v147, 0x3b76, -v137
	v_mul_f16_e64 v159, 0xb836, v123
	v_add_f16_e32 v49, v124, v49
	v_add_f16_e32 v90, v117, v90
	v_mul_f16_e32 v117, 0x3a62, v123
	v_fma_f16 v124, v147, 0x3722, -v149
	v_add_f16_e32 v51, v51, v52
	v_fma_f16 v52, v147, 0xbacd, -v159
	v_mul_f16_e32 v123, 0x3964, v123
	v_fma_f16 v125, 0xb8d2, v147, v117
	v_add_f16_e32 v89, v124, v89
	v_fma_f16 v117, v147, 0xb8d2, -v117
	v_add_f16_e32 v52, v52, v108
	v_fma_f16 v124, 0x39e9, v147, v123
	v_mul_f16_e32 v108, 0xbbb2, v53
	v_sub_f16_e32 v127, v13, v4
	v_add_f16_e32 v115, v125, v115
	v_add_f16_e32 v125, v117, v110
	;; [unrolled: 1-line block ×3, first 2 shown]
	v_fma_f16 v123, v147, 0x39e9, -v123
	v_fmamk_f16 v124, v77, 0xb461, v108
	v_add_f16_e64 v152, v30, v37
	v_mul_f16_e32 v110, 0xbbb2, v127
	v_mul_f16_e32 v117, 0x3836, v127
	v_mul_f16_e64 v135, 0x3964, v127
	v_add_f16_e32 v85, v123, v85
	v_add_f16_e32 v87, v124, v87
	v_fma_f16 v123, v152, 0xb461, -v110
	v_fma_f16 v124, v152, 0xbacd, -v117
	v_mul_f16_e64 v136, 0xbb29, v53
	v_fma_f16 v130, v152, 0x39e9, -v135
	v_mul_f16_e64 v154, 0xb1e1, v127
	v_add_f16_e32 v53, v123, v88
	v_add_f16_e32 v49, v124, v49
	v_fma_f16 v88, 0x3722, v77, v136
	v_mul_f16_e32 v124, 0xb5c8, v127
	v_mul_f16_e64 v144, 0xbb29, v127
	v_add_f16_e64 v50, v130, v50
	v_mul_f16_e64 v163, 0x3bf7, v127
	v_add_f16_e32 v88, v88, v90
	v_fma_f16 v90, v152, 0xbbdd, -v154
	v_fma_f16 v130, 0x3b76, v152, v124
	v_mul_f16_e32 v127, 0xba62, v127
	v_fma_f16 v124, v152, 0x3b76, -v124
	v_fma_f16 v123, v152, 0x3722, -v144
	v_add_f16_e32 v89, v90, v89
	v_add_f16_e64 v90, v130, v115
	v_sub_f16_e64 v130, v10, v7
	v_add_f16_e32 v124, v124, v125
	v_fma_f16 v125, v152, 0xb8d2, -v127
	v_add_f16_e32 v51, v123, v51
	v_fma_f16 v123, v152, 0x2de8, -v163
	v_mul_f16_e32 v115, 0xba62, v75
	v_add_f16_e64 v157, v32, v36
	v_add_f16_e32 v85, v125, v85
	v_mul_f16_e64 v125, 0x3bb2, v130
	v_add_f16_e32 v52, v123, v52
	v_fma_f16 v123, 0xb8d2, v152, v127
	v_fmamk_f16 v127, v79, 0xb8d2, v115
	v_mul_f16_e64 v140, 0xb5c8, v130
	v_mul_f16_e64 v141, 0xb836, v75
	v_fma_f16 v75, v157, 0xb461, -v125
	v_mul_f16_e64 v148, 0xb836, v130
	v_add_f16_e32 v123, v123, v116
	v_mul_f16_e64 v116, 0xba62, v130
	v_add_f16_e32 v87, v127, v87
	v_fma_f16 v127, v157, 0x3b76, -v140
	v_add_f16_e32 v49, v75, v49
	v_fma_f16 v75, v157, 0xbacd, -v148
	v_mul_f16_e64 v167, 0xb964, v130
	v_fma_f16 v131, v157, 0xb8d2, -v116
	v_add_f16_e32 v50, v127, v50
	v_mul_f16_e64 v160, 0x3bf7, v130
	v_mul_f16_e64 v127, 0xb1e1, v130
	v_add_f16_e32 v51, v75, v51
	v_mul_f16_e64 v75, 0x3b29, v130
	v_fma_f16 v130, v157, 0x39e9, -v167
	v_add_f16_e64 v53, v131, v53
	v_fma_f16 v131, 0xbacd, v79, v141
	v_fma_f16 v138, 0xbbdd, v157, v127
	v_fma_f16 v127, v157, 0xbbdd, -v127
	v_add_f16_e64 v52, v130, v52
	v_sub_f16_e64 v130, v11, v6
	v_add_f16_e64 v88, v131, v88
	v_fma_f16 v131, v157, 0x2de8, -v160
	v_add_f16_e64 v90, v138, v90
	v_add_f16_e64 v138, v127, v124
	;; [unrolled: 1-line block ×3, first 2 shown]
	v_mul_f16_e64 v124, 0xb836, v130
	v_add_f16_e64 v89, v131, v89
	v_fma_f16 v131, 0x3722, v157, v75
	v_mul_f16_e64 v150, 0xbbf7, v130
	v_fma_f16 v75, v157, 0x3722, -v75
	v_fma_f16 v151, v161, 0xbacd, -v124
	v_mul_f16_e64 v168, 0xb1e1, v130
	v_add_f16_e64 v156, v131, v123
	v_mul_f16_e32 v123, 0xb836, v81
	v_mul_f16_e64 v131, 0x3b29, v130
	v_fma_f16 v155, v161, 0x2de8, -v150
	v_add_f16_e64 v53, v151, v53
	v_mul_f16_e64 v151, 0x3a62, v81
	v_fmamk_f16 v127, v86, 0xbacd, v123
	v_add_f16_e32 v75, v75, v85
	v_fma_f16 v85, v161, 0x3722, -v131
	v_add_f16_e64 v81, v155, v50
	v_mul_f16_e64 v155, 0x3a62, v130
	v_fma_f16 v50, 0xb8d2, v86, v151
	v_add_f16_e32 v87, v127, v87
	v_add_f16_e32 v49, v85, v49
	v_mul_f16_e64 v85, 0x3964, v130
	v_fma_f16 v127, v161, 0xb8d2, -v155
	v_add_f16_e32 v88, v50, v88
	v_fma_f16 v50, v161, 0xbbdd, -v168
	v_mul_f16_e64 v165, 0xb5c8, v130
	v_fma_f16 v162, 0x39e9, v161, v85
	v_add_f16_e64 v170, v127, v51
	v_mul_f16_e64 v51, 0xbbb2, v130
	v_add_f16_e64 v171, v50, v52
	v_fma_f16 v50, v161, 0x39e9, -v85
	v_sub_f16_e32 v85, v8, v9
	v_fma_f16 v158, v161, 0x3b76, -v165
	v_fma_f16 v52, 0xb461, v161, v51
	v_fma_f16 v51, v161, 0xb461, -v51
	v_add_f16_e64 v164, v33, v34
	v_mul_f16_e64 v130, 0xb1e1, v85
	v_add_f16_e64 v172, v50, v138
	v_mul_f16_e64 v138, 0x35c8, v85
	v_add_f16_e64 v89, v158, v89
	v_add_f16_e64 v90, v162, v90
	v_mul_f16_e32 v127, 0xb1e1, v84
	v_add_f16_e64 v173, v52, v156
	v_add_f16_e64 v174, v51, v75
	v_fma_f16 v51, v164, 0xbbdd, -v130
	v_mul_f16_e64 v156, 0xb836, v85
	v_mul_f16_e64 v158, 0x3964, v84
	v_fma_f16 v52, v164, 0x3b76, -v138
	v_mul_f16_e64 v162, 0x3964, v85
	v_fmamk_f16 v50, v97, 0xbbdd, v127
	v_add_f16_e32 v51, v51, v53
	v_fma_f16 v53, v164, 0xbacd, -v156
	v_fma_f16 v75, 0x39e9, v97, v158
	v_mul_f16_e64 v166, 0xba62, v85
	v_add_f16_e32 v52, v52, v49
	v_fma_f16 v49, v164, 0x39e9, -v162
	s_clause 0x1
	s_load_b64 s[4:5], s[0:1], 0x20
	s_load_b64 s[2:3], s[0:1], 0x8
	v_add_f16_e32 v50, v50, v87
	v_add_f16_e32 v53, v53, v81
	;; [unrolled: 1-line block ×3, first 2 shown]
	v_fma_f16 v75, v164, 0xb8d2, -v166
	v_mul_f16_e64 v169, 0x3b29, v85
	v_mul_f16_e32 v87, 0xbbb2, v85
	v_add_f16_e64 v84, v49, v170
	v_mul_f16_e32 v49, 0x3bf7, v85
	v_add_f16_e32 v85, v75, v89
	v_fma_f16 v75, v164, 0x3722, -v169
	v_fma_f16 v88, 0xb461, v164, v87
	v_fma_f16 v89, v164, 0xb461, -v87
	v_fma_f16 v170, 0x2de8, v164, v49
	v_fma_f16 v49, v164, 0x2de8, -v49
	v_add_f16_e64 v87, v75, v171
	v_add_f16_e32 v75, v88, v90
	v_add_f16_e64 v88, v89, v172
	v_add_f16_e64 v90, v170, v173
	;; [unrolled: 1-line block ×3, first 2 shown]
	v_mul_lo_u16 v49, v48, 17
	global_wb scope:SCOPE_SE
	s_wait_kmcnt 0x0
	s_barrier_signal -1
	s_barrier_wait -1
	global_inv scope:SCOPE_SE
	s_and_saveexec_b32 s0, vcc_lo
	s_cbranch_execz .LBB0_7
; %bb.6:
	v_mul_f16_e64 v171, 0x3b76, v146
	v_mul_f16_e64 v173, 0x39e9, v146
	;; [unrolled: 1-line block ×10, first 2 shown]
	v_add_f16_e64 v142, v142, v146
	v_mul_f16_e64 v146, 0xb461, v134
	v_mul_f16_e64 v178, 0xb461, v67
	v_mul_f16_e32 v67, 0xb8d2, v67
	v_mul_f16_e64 v190, 0xbacd, v147
	v_add_f16_e64 v142, v142, v96
	v_add_f16_e64 v143, v143, v146
	v_mul_f16_e64 v146, 0x3b76, v145
	v_mul_f16_e64 v180, 0x39e9, v64
	;; [unrolled: 1-line block ×4, first 2 shown]
	v_add_f16_e64 v142, v143, v142
	v_add_f16_e64 v143, v153, v146
	v_mul_f16_e64 v186, 0xbbdd, v64
	v_mul_f16_e64 v188, 0xbacd, v64
	v_mul_f16_e32 v64, 0xb461, v64
	v_sub_f16_e32 v61, v67, v61
	v_add_f16_e64 v142, v143, v142
	v_add_f16_e64 v159, v159, v190
	v_mul_f16_e64 v190, 0x2de8, v152
	v_sub_f16_e32 v64, v64, v69
	v_add_f16_e32 v61, v61, v0
	v_mul_f16_e64 v181, 0x39e9, v134
	v_add_f16_e64 v142, v159, v142
	v_mul_f16_e64 v159, 0x3b76, v68
	v_add_f16_e64 v163, v163, v190
	v_add_f16_e32 v61, v64, v61
	v_mul_f16_e64 v183, 0x2de8, v134
	v_mul_f16_e64 v185, 0xb8d2, v134
	v_sub_f16_e64 v72, v159, v72
	v_mul_f16_e64 v159, 0x39e9, v157
	v_add_f16_e64 v142, v163, v142
	v_mul_f16_e64 v163, 0xbacd, v73
	v_mul_f16_e64 v187, 0xbbdd, v134
	v_add_f16_e32 v61, v72, v61
	v_add_f16_e64 v159, v167, v159
	v_mul_f16_e64 v72, 0xbbdd, v161
	v_sub_f16_e64 v80, v163, v80
	v_mul_f16_e64 v134, 0xbacd, v134
	v_add_f16_e64 v132, v132, v179
	v_add_f16_e64 v142, v159, v142
	v_mul_f16_e64 v159, 0x2de8, v77
	v_add_f16_e64 v72, v168, v72
	v_add_f16_e32 v61, v80, v61
	v_add_f16_e64 v133, v133, v134
	v_mul_f16_e64 v134, 0xbbdd, v86
	v_sub_f16_e64 v82, v159, v82
	v_add_f16_e64 v72, v72, v142
	v_mul_f16_e64 v142, 0x39e9, v79
	v_mul_f16_e64 v153, 0x3722, v145
	;; [unrolled: 1-line block ×3, first 2 shown]
	v_add_f16_e32 v61, v82, v61
	v_mul_f16_e64 v69, 0xbbdd, v145
	v_sub_f16_e64 v98, v142, v98
	v_mul_f16_e64 v64, 0xb461, v145
	v_mul_f16_e64 v145, 0x39e9, v145
	v_add_f16_e64 v132, v132, v96
	v_sub_f16_e64 v102, v134, v102
	v_add_f16_e32 v61, v98, v61
	v_sub_f16_e64 v57, v178, v57
	v_mul_f16_e64 v146, 0x3722, v68
	v_mul_f16_e64 v189, 0xb8d2, v68
	v_mul_f16_e32 v67, 0xbbdd, v68
	v_mul_f16_e64 v190, 0xb461, v68
	v_mul_f16_e32 v68, 0x39e9, v68
	v_mul_f16_e64 v163, 0x2de8, v147
	v_mul_f16_e64 v80, 0x3722, v164
	;; [unrolled: 1-line block ×6, first 2 shown]
	v_add_f16_e64 v132, v133, v132
	v_add_f16_e64 v139, v139, v145
	v_add_f16_e32 v61, v102, v61
	v_mul_f16_e32 v102, 0x3722, v97
	v_sub_f16_e64 v59, v188, v59
	v_add_f16_e32 v57, v57, v0
	v_mul_f16_e64 v167, 0x2de8, v73
	v_mul_f16_e64 v168, 0xbbdd, v73
	v_add_f16_e64 v80, v169, v80
	v_mul_f16_e64 v169, 0xb461, v73
	v_mul_f16_e64 v142, 0x3b76, v73
	v_mul_f16_e32 v73, 0x3722, v73
	v_mul_f16_e64 v134, 0xb461, v152
	v_mul_f16_e64 v145, 0xbacd, v152
	v_add_f16_e64 v132, v139, v132
	v_mul_f16_e64 v139, 0x39e9, v152
	v_add_f16_e64 v147, v149, v147
	v_sub_f16_e32 v102, v102, v105
	v_mul_f16_e64 v105, 0x3722, v152
	v_mul_f16_e64 v152, 0xbbdd, v152
	v_add_f16_e32 v57, v59, v57
	v_sub_f16_e32 v63, v68, v63
	v_add_f16_e64 v119, v119, v177
	v_mul_f16_e32 v98, 0xb461, v77
	v_mul_f16_e64 v133, 0xbacd, v77
	v_add_f16_e32 v72, v80, v72
	v_mul_f16_e32 v80, 0x39e9, v77
	v_mul_f16_e64 v149, 0x3722, v77
	v_mul_f16_e32 v77, 0xbbdd, v77
	v_add_f16_e64 v132, v147, v132
	v_add_f16_e64 v152, v154, v152
	v_mul_f16_e64 v59, 0x2de8, v157
	v_add_f16_e32 v57, v63, v57
	v_sub_f16_e32 v70, v73, v70
	v_add_f16_e64 v120, v120, v187
	v_add_f16_e32 v119, v119, v96
	v_mul_f16_e64 v147, 0xb8d2, v79
	v_mul_f16_e64 v154, 0xb461, v79
	v_add_f16_e32 v61, v102, v61
	v_mul_f16_e32 v102, 0x3b76, v79
	v_add_f16_e64 v132, v152, v132
	v_mul_f16_e32 v68, 0xbacd, v79
	v_mul_f16_e32 v79, 0x2de8, v79
	v_add_f16_e64 v59, v160, v59
	v_mul_f16_e64 v63, 0x3b76, v161
	v_add_f16_e32 v57, v70, v57
	v_sub_f16_e32 v76, v77, v76
	v_add_f16_e32 v119, v120, v119
	v_add_f16_e64 v64, v129, v64
	v_mul_f16_e64 v160, 0xbacd, v86
	v_add_f16_e64 v59, v59, v132
	v_mul_f16_e64 v132, 0x3722, v86
	v_add_f16_e64 v63, v165, v63
	v_mul_f16_e32 v70, 0x2de8, v86
	v_mul_f16_e64 v177, 0xb8d2, v86
	v_mul_f16_e32 v86, 0x3b76, v86
	v_add_f16_e32 v57, v76, v57
	v_sub_f16_e32 v79, v79, v83
	v_add_f16_e32 v64, v64, v119
	v_mul_f16_e64 v119, 0xb8d2, v164
	v_mul_f16_e64 v187, 0xbbdd, v97
	v_mul_f16_e32 v83, 0x3b76, v97
	v_mul_f16_e64 v129, 0xbacd, v97
	v_add_f16_e32 v57, v79, v57
	v_sub_f16_e32 v86, v86, v91
	v_mul_f16_e32 v91, 0x39e9, v97
	v_mul_f16_e32 v97, 0xb8d2, v97
	v_add_f16_e32 v59, v63, v59
	v_add_f16_e64 v63, v166, v119
	v_add_f16_e32 v57, v86, v57
	v_add_f16_e32 v69, v121, v69
	v_sub_f16_e32 v86, v97, v99
	v_sub_f16_e64 v99, v186, v113
	v_add_f16_e32 v59, v63, v59
	v_sub_f16_e64 v63, v176, v114
	v_add_f16_e64 v97, v144, v105
	v_add_f16_e32 v57, v86, v57
	v_add_f16_e64 v86, v109, v175
	v_add_f16_e64 v105, v111, v185
	v_add_f16_e32 v63, v63, v0
	v_add_f16_e32 v82, v126, v82
	v_sub_f16_e64 v44, v174, v44
	v_add_f16_e32 v86, v86, v96
	v_mul_f16_e64 v152, 0x3b76, v157
	v_add_f16_e32 v63, v99, v63
	v_sub_f16_e64 v99, v190, v122
	v_add_f16_e32 v44, v44, v0
	v_add_f16_e32 v86, v105, v86
	v_sub_f16_e64 v45, v184, v45
	v_sub_f16_e64 v68, v68, v141
	v_add_f16_e32 v63, v99, v63
	v_sub_f16_e64 v99, v142, v128
	v_add_f16_e32 v69, v69, v86
	v_sub_f16_e64 v86, v149, v136
	v_mul_f16_e64 v77, 0x2de8, v161
	v_add_f16_e32 v44, v45, v44
	v_add_f16_e32 v63, v99, v63
	;; [unrolled: 1-line block ×3, first 2 shown]
	v_add_f16_e64 v82, v135, v139
	v_sub_f16_e32 v45, v67, v54
	v_mul_f16_e64 v79, 0xbacd, v164
	v_add_f16_e32 v63, v86, v63
	v_sub_f16_e64 v42, v172, v42
	v_add_f16_e32 v69, v82, v69
	v_add_f16_e64 v82, v140, v152
	v_add_f16_e32 v44, v45, v44
	v_add_f16_e32 v54, v68, v63
	v_sub_f16_e64 v63, v177, v151
	v_add_f16_e64 v68, v150, v77
	v_add_f16_e32 v67, v82, v69
	v_sub_f16_e64 v45, v169, v58
	v_sub_f16_e64 v58, v91, v158
	v_add_f16_e32 v54, v63, v54
	v_add_f16_e32 v42, v42, v0
	;; [unrolled: 1-line block ×3, first 2 shown]
	v_add_f16_e64 v67, v156, v79
	v_sub_f16_e64 v43, v182, v43
	v_add_f16_e32 v54, v58, v54
	v_add_f16_e64 v58, v104, v173
	v_add_f16_e32 v44, v45, v44
	v_sub_f16_e32 v45, v80, v62
	v_add_f16_e32 v62, v67, v63
	v_add_f16_e64 v63, v103, v183
	v_add_f16_e32 v58, v58, v96
	v_add_f16_e32 v42, v43, v42
	v_sub_f16_e64 v43, v189, v46
	v_add_f16_e32 v41, v41, v96
	v_add_f16_e32 v1, v1, v0
	;; [unrolled: 1-line block ×3, first 2 shown]
	v_add_f16_e64 v63, v112, v143
	v_add_f16_e32 v42, v43, v42
	v_sub_f16_e64 v43, v168, v55
	v_add_f16_e32 v40, v40, v41
	v_add_f16_e32 v1, v14, v1
	;; [unrolled: 1-line block ×3, first 2 shown]
	v_add_f16_e64 v58, v118, v159
	v_add_f16_e32 v42, v43, v42
	v_sub_f16_e64 v14, v133, v56
	v_add_f16_e32 v39, v39, v40
	v_add_f16_e32 v1, v15, v1
	v_mul_f16_e64 v188, 0xb461, v157
	v_add_f16_e32 v46, v58, v46
	v_add_f16_e64 v55, v117, v145
	v_add_f16_e32 v14, v14, v42
	v_sub_f16_e64 v15, v154, v60
	v_add_f16_e32 v38, v38, v39
	v_add_f16_e32 v1, v12, v1
	v_mul_f16_e64 v165, 0x3722, v161
	v_add_f16_e32 v41, v55, v46
	;; [unrolled: 7-line block ×3, first 2 shown]
	v_add_f16_e64 v12, v131, v165
	v_add_f16_e32 v14, v15, v14
	v_add_f16_e32 v15, v36, v37
	;; [unrolled: 1-line block ×3, first 2 shown]
	v_add_f16_e64 v13, v138, v120
	v_add_f16_e32 v12, v12, v40
	v_sub_f16_e32 v10, v83, v71
	v_add_f16_e32 v15, v35, v15
	v_add_f16_e32 v1, v11, v1
	v_sub_f16_e64 v11, v170, v92
	v_add_f16_e32 v12, v13, v12
	v_add_f16_e64 v13, v94, v171
	v_add_f16_e32 v10, v10, v14
	v_add_f16_e32 v14, v34, v15
	;; [unrolled: 1-line block ×3, first 2 shown]
	v_add_f16_e64 v8, v95, v181
	v_add_f16_e32 v13, v13, v96
	v_add_f16_e32 v0, v11, v0
	v_sub_f16_e64 v11, v180, v93
	v_add_f16_e32 v14, v33, v14
	v_add_f16_e32 v1, v9, v1
	;; [unrolled: 1-line block ×3, first 2 shown]
	v_add_f16_e64 v9, v101, v153
	v_add_f16_e32 v0, v11, v0
	v_add_f16_e32 v11, v31, v14
	;; [unrolled: 1-line block ×3, first 2 shown]
	v_sub_f16_e64 v6, v146, v100
	v_add_f16_e32 v8, v9, v8
	v_add_f16_e64 v9, v107, v163
	v_add_f16_e32 v11, v32, v11
	v_add_f16_e32 v1, v7, v1
	;; [unrolled: 1-line block ×3, first 2 shown]
	v_sub_f16_e64 v6, v167, v106
	v_add_f16_e32 v7, v9, v8
	v_add_f16_e32 v8, v30, v11
	;; [unrolled: 1-line block ×3, first 2 shown]
	v_add_f16_e64 v137, v137, v179
	v_mul_f16_e64 v178, 0xb8d2, v157
	v_add_f16_e64 v4, v110, v134
	v_add_f16_e32 v0, v6, v0
	v_sub_f16_e32 v6, v98, v108
	v_add_f16_e32 v8, v29, v8
	v_add_f16_e32 v1, v5, v1
	v_mul_f16_e64 v157, 0xbacd, v157
	v_add_f16_e64 v64, v137, v64
	v_mul_f16_e64 v73, 0xbacd, v161
	v_add_f16_e32 v4, v4, v7
	v_add_f16_e64 v5, v116, v178
	v_add_f16_e32 v0, v6, v0
	v_add_f16_e32 v6, v26, v8
	;; [unrolled: 1-line block ×3, first 2 shown]
	v_sub_f16_e64 v2, v147, v115
	v_mul_f16_e64 v161, 0xb8d2, v161
	v_add_f16_e32 v64, v97, v64
	v_add_f16_e64 v97, v148, v157
	v_add_f16_e32 v44, v45, v44
	v_sub_f16_e32 v45, v102, v66
	v_add_f16_e32 v4, v5, v4
	v_add_f16_e32 v5, v124, v73
	;; [unrolled: 1-line block ×4, first 2 shown]
	v_mul_f16_e64 v76, 0xbbdd, v164
	v_add_f16_e32 v0, v2, v0
	v_sub_f16_e64 v2, v160, v123
	v_mul_f16_e64 v164, 0x39e9, v164
	v_add_f16_e32 v64, v97, v64
	v_add_f16_e64 v97, v155, v161
	v_add_f16_e32 v44, v45, v44
	v_sub_f16_e32 v45, v70, v74
	v_add_f16_e32 v3, v5, v4
	v_add_f16_e32 v4, v24, v6
	;; [unrolled: 1-line block ×3, first 2 shown]
	v_add_f16_e64 v5, v130, v76
	v_add_f16_e32 v0, v2, v0
	v_sub_f16_e64 v2, v187, v127
	v_add_f16_e32 v64, v97, v64
	v_add_f16_e64 v97, v162, v164
	v_add_f16_e32 v44, v45, v44
	v_sub_f16_e64 v45, v129, v78
	v_lshlrev_b32_e32 v4, 16, v4
	v_and_b32_e32 v1, 0xffff, v1
	v_and_b32_e32 v6, 0xffff, v49
	v_add_f16_e32 v3, v5, v3
	v_add_f16_e32 v0, v2, v0
	;; [unrolled: 1-line block ×4, first 2 shown]
	v_or_b32_e32 v1, v4, v1
	v_lshlrev_b32_e32 v4, 2, v6
	v_pack_b32_f16 v5, v10, v12
	v_pack_b32_f16 v0, v0, v3
	;; [unrolled: 1-line block ×6, first 2 shown]
	ds_store_b32 v4, v1
	ds_store_2addr_b32 v4, v0, v5 offset0:1 offset1:2
	ds_store_2addr_b32 v4, v2, v3 offset0:3 offset1:4
	;; [unrolled: 1-line block ×3, first 2 shown]
	v_perm_b32 v0, v90, v17, 0x5040100
	v_perm_b32 v1, v75, v16, 0x5040100
	v_perm_b32 v2, v88, v28, 0x5040100
	v_perm_b32 v3, v89, v27, 0x5040100
	v_perm_b32 v5, v85, v19, 0x5040100
	v_perm_b32 v6, v87, v18, 0x5040100
	v_perm_b32 v7, v53, v21, 0x5040100
	v_perm_b32 v8, v84, v81, 0x5040100
	v_perm_b32 v9, v51, v50, 0x5040100
	v_perm_b32 v10, v52, v22, 0x5040100
	ds_store_2addr_b32 v4, v1, v0 offset0:7 offset1:8
	ds_store_2addr_b32 v4, v3, v2 offset0:9 offset1:10
	;; [unrolled: 1-line block ×5, first 2 shown]
.LBB0_7:
	s_wait_alu 0xfffe
	s_or_b32 exec_lo, exec_lo, s0
	v_add_nc_u32_e32 v0, 0x680, v47
	v_add_nc_u32_e32 v1, 0xd80, v47
	global_wb scope:SCOPE_SE
	s_wait_dscnt 0x0
	s_barrier_signal -1
	s_barrier_wait -1
	global_inv scope:SCOPE_SE
	ds_load_2addr_b32 v[8:9], v47 offset1:221
	ds_load_2addr_b32 v[12:13], v0 offset0:26 offset1:247
	ds_load_2addr_b32 v[10:11], v1 offset0:20 offset1:241
	ds_load_b32 v14, v47 offset:5304
	v_cmp_gt_u16_e64 s0, 0x66, v48
	s_delay_alu instid0(VALU_DEP_1)
	s_and_saveexec_b32 s1, s0
	s_cbranch_execz .LBB0_9
; %bb.8:
	v_add_nc_u32_e32 v0, 0x180, v47
	v_add_nc_u32_e32 v1, 0x880, v47
	v_add_nc_u32_e32 v2, 0xf80, v47
	ds_load_2addr_b32 v[16:17], v0 offset0:23 offset1:244
	ds_load_2addr_b32 v[27:28], v1 offset0:17 offset1:238
	;; [unrolled: 1-line block ×3, first 2 shown]
	ds_load_b32 v81, v47 offset:5780
	s_wait_dscnt 0x3
	v_lshrrev_b32_e32 v75, 16, v16
	v_lshrrev_b32_e32 v90, 16, v17
	s_wait_dscnt 0x2
	v_lshrrev_b32_e32 v89, 16, v27
	v_lshrrev_b32_e32 v88, 16, v28
	;; [unrolled: 3-line block ×3, first 2 shown]
	s_wait_dscnt 0x0
	v_lshrrev_b32_e32 v84, 16, v81
.LBB0_9:
	s_wait_alu 0xfffe
	s_or_b32 exec_lo, exec_lo, s1
	v_and_b32_e32 v0, 0xff, v48
	s_wait_dscnt 0x3
	v_lshrrev_b32_e32 v31, 16, v9
	s_wait_dscnt 0x2
	v_lshrrev_b32_e32 v32, 16, v12
	v_lshrrev_b32_e32 v33, 16, v13
	s_wait_dscnt 0x1
	v_lshrrev_b32_e32 v34, 16, v10
	v_mul_lo_u16 v0, 0xf1, v0
	v_lshrrev_b32_e32 v35, 16, v11
	s_wait_dscnt 0x0
	v_lshrrev_b32_e32 v36, 16, v14
	v_lshrrev_b32_e32 v37, 16, v8
	v_lshrrev_b16 v15, 12, v0
	v_add_nc_u16 v0, v48, 0x77
	s_delay_alu instid0(VALU_DEP_2) | instskip(NEXT) | instid1(VALU_DEP_2)
	v_mul_lo_u16 v1, v15, 17
	v_and_b32_e32 v2, 0xff, v0
	v_and_b32_e32 v15, 0xffff, v15
	s_delay_alu instid0(VALU_DEP_3) | instskip(NEXT) | instid1(VALU_DEP_3)
	v_sub_nc_u16 v1, v48, v1
	v_mul_lo_u16 v2, 0xf1, v2
	s_delay_alu instid0(VALU_DEP_3) | instskip(NEXT) | instid1(VALU_DEP_3)
	v_mul_u32_u24_e32 v15, 0x77, v15
	v_and_b32_e32 v29, 0xff, v1
	s_delay_alu instid0(VALU_DEP_3) | instskip(NEXT) | instid1(VALU_DEP_2)
	v_lshrrev_b16 v30, 12, v2
	v_mul_u32_u24_e32 v1, 6, v29
	s_delay_alu instid0(VALU_DEP_2) | instskip(SKIP_2) | instid1(VALU_DEP_4)
	v_mul_lo_u16 v2, v30, 17
	v_and_b32_e32 v55, 0xffff, v30
	v_add_lshl_u32 v62, v15, v29, 2
	v_lshlrev_b32_e32 v1, 2, v1
	s_delay_alu instid0(VALU_DEP_4) | instskip(SKIP_4) | instid1(VALU_DEP_1)
	v_sub_nc_u16 v0, v0, v2
	s_clause 0x1
	global_load_b128 v[4:7], v1, s[2:3]
	global_load_b64 v[25:26], v1, s[2:3] offset:16
	v_and_b32_e32 v54, 0xff, v0
	v_mul_u32_u24_e32 v0, 6, v54
	s_delay_alu instid0(VALU_DEP_1)
	v_lshlrev_b32_e32 v23, 2, v0
	s_clause 0x1
	global_load_b128 v[0:3], v23, s[2:3]
	global_load_b64 v[23:24], v23, s[2:3] offset:16
	s_load_b128 s[4:7], s[4:5], 0x0
	global_wb scope:SCOPE_SE
	s_wait_loadcnt 0x0
	s_wait_kmcnt 0x0
	s_barrier_signal -1
	s_barrier_wait -1
	global_inv scope:SCOPE_SE
	v_lshrrev_b32_e32 v80, 16, v4
	v_lshrrev_b32_e32 v78, 16, v5
	;; [unrolled: 1-line block ×6, first 2 shown]
	v_mul_f16_e32 v15, v31, v80
	v_mul_f16_e32 v29, v9, v80
	;; [unrolled: 1-line block ×12, first 2 shown]
	v_lshrrev_b32_e32 v60, 16, v0
	v_lshrrev_b32_e32 v58, 16, v1
	;; [unrolled: 1-line block ×6, first 2 shown]
	v_fma_f16 v9, v9, v4, -v15
	v_fmac_f16_e32 v29, v31, v4
	v_fma_f16 v12, v12, v5, -v30
	v_fmac_f16_e32 v38, v32, v5
	;; [unrolled: 2-line block ×6, first 2 shown]
	v_mul_f16_e32 v15, v90, v60
	v_mul_f16_e32 v30, v17, v60
	;; [unrolled: 1-line block ×12, first 2 shown]
	v_fma_f16 v15, v17, v0, -v15
	v_fmac_f16_e32 v30, v90, v0
	v_fma_f16 v17, v27, v1, -v31
	v_fmac_f16_e32 v32, v89, v1
	v_fma_f16 v27, v28, v2, -v33
	v_fma_f16 v18, v18, v3, -v35
	;; [unrolled: 1-line block ×3, first 2 shown]
	v_fmac_f16_e32 v41, v85, v23
	v_fma_f16 v28, v81, v24, -v43
	v_fmac_f16_e32 v45, v84, v24
	v_add_f16_e32 v31, v9, v14
	v_add_f16_e32 v33, v29, v46
	v_sub_f16_e32 v35, v9, v14
	v_sub_f16_e32 v29, v29, v46
	v_add_f16_e32 v9, v12, v11
	v_add_f16_e32 v14, v38, v44
	v_sub_f16_e32 v11, v12, v11
	v_sub_f16_e32 v12, v38, v44
	;; [unrolled: 4-line block ×3, first 2 shown]
	v_fmac_f16_e32 v34, v88, v2
	v_fmac_f16_e32 v36, v87, v3
	v_add_f16_e32 v40, v9, v31
	v_add_f16_e32 v42, v14, v33
	v_sub_f16_e32 v44, v14, v33
	v_sub_f16_e32 v63, v39, v14
	v_add_f16_e32 v64, v10, v11
	v_add_f16_e32 v65, v13, v12
	v_sub_f16_e32 v66, v10, v11
	v_sub_f16_e32 v67, v13, v12
	;; [unrolled: 1-line block ×5, first 2 shown]
	v_add_f16_e32 v10, v15, v28
	v_add_f16_e32 v13, v30, v45
	v_sub_f16_e32 v14, v15, v28
	v_add_f16_e32 v12, v17, v19
	v_add_f16_e32 v15, v32, v41
	v_sub_f16_e32 v43, v9, v31
	v_sub_f16_e32 v31, v31, v38
	;; [unrolled: 1-line block ×8, first 2 shown]
	v_add_f16_e32 v28, v27, v18
	v_add_f16_e32 v32, v34, v36
	v_sub_f16_e32 v27, v18, v27
	v_sub_f16_e32 v34, v36, v34
	v_add_f16_e32 v38, v38, v40
	v_add_f16_e32 v39, v39, v42
	v_mul_f16_e32 v42, 0xb846, v66
	v_mul_f16_e32 v45, 0xb846, v67
	v_add_f16_e32 v66, v12, v10
	v_add_f16_e32 v67, v15, v13
	;; [unrolled: 1-line block ×4, first 2 shown]
	v_mul_f16_e32 v35, 0x3a52, v31
	v_mul_f16_e32 v33, 0x3a52, v33
	;; [unrolled: 1-line block ×6, first 2 shown]
	v_sub_f16_e32 v76, v10, v28
	v_sub_f16_e32 v79, v13, v32
	;; [unrolled: 1-line block ×3, first 2 shown]
	v_add_f16_e32 v81, v27, v17
	v_sub_f16_e32 v19, v27, v17
	v_sub_f16_e32 v27, v14, v27
	;; [unrolled: 1-line block ×3, first 2 shown]
	v_add_f16_e32 v84, v38, v8
	v_add_f16_e32 v37, v39, v37
	;; [unrolled: 1-line block ×4, first 2 shown]
	v_sub_f16_e32 v31, v32, v15
	v_add_f16_e32 v82, v34, v11
	v_sub_f16_e32 v18, v34, v11
	v_fmamk_f16 v46, v46, 0x2b26, v35
	v_fmamk_f16 v63, v63, 0x2b26, v33
	v_fma_f16 v85, v43, 0x39e0, -v36
	v_fma_f16 v86, v44, 0x39e0, -v41
	;; [unrolled: 1-line block ×3, first 2 shown]
	v_fmamk_f16 v87, v68, 0x3574, v42
	v_fmamk_f16 v88, v69, 0x3574, v45
	v_fma_f16 v42, v70, 0x3b00, -v42
	v_fma_f16 v45, v73, 0x3b00, -v45
	;; [unrolled: 1-line block ×4, first 2 shown]
	v_mul_f16_e32 v33, 0x3a52, v76
	v_mul_f16_e32 v34, 0x3a52, v79
	;; [unrolled: 1-line block ×4, first 2 shown]
	v_lshlrev_b32_e32 v67, 16, v37
	v_and_b32_e32 v68, 0xffff, v84
	v_fmac_f16_e32 v84, 0xbcab, v38
	v_fmac_f16_e32 v37, 0xbcab, v39
	v_add_f16_e32 v8, v16, v28
	v_add_f16_e32 v16, v75, v66
	v_fma_f16 v43, v43, 0xb9e0, -v35
	v_add_f16_e32 v41, v81, v14
	v_add_f16_e32 v35, v82, v9
	v_fmac_f16_e32 v87, 0x370e, v40
	v_fmac_f16_e32 v88, 0x370e, v29
	;; [unrolled: 1-line block ×6, first 2 shown]
	v_fmamk_f16 v38, v30, 0x2b26, v33
	v_fmamk_f16 v40, v31, 0x2b26, v34
	;; [unrolled: 1-line block ×4, first 2 shown]
	v_add_f16_e32 v46, v46, v84
	v_add_f16_e32 v63, v63, v37
	;; [unrolled: 1-line block ×4, first 2 shown]
	v_fmamk_f16 v37, v28, 0xbcab, v8
	v_fmamk_f16 v39, v66, 0xbcab, v16
	v_or_b32_e32 v67, v67, v68
	v_add_f16_e32 v68, v85, v84
	v_add_f16_e32 v43, v43, v84
	v_fmac_f16_e32 v27, 0x370e, v41
	v_fmac_f16_e32 v29, 0x370e, v35
	v_add_f16_e32 v66, v88, v46
	v_sub_f16_e32 v70, v63, v87
	v_add_f16_e32 v38, v38, v37
	v_add_f16_e32 v40, v40, v39
	;; [unrolled: 1-line block ×3, first 2 shown]
	v_sub_f16_e32 v75, v44, v64
	v_sub_f16_e32 v76, v68, v45
	v_add_f16_e32 v79, v42, v69
	v_add_f16_e32 v45, v45, v68
	v_sub_f16_e32 v42, v69, v42
	v_sub_f16_e32 v43, v43, v65
	v_add_f16_e32 v44, v64, v44
	v_sub_f16_e32 v46, v46, v88
	v_add_f16_e32 v63, v87, v63
	v_sub_f16_e32 v28, v38, v29
	v_pack_b32_f16 v64, v66, v70
	v_add_f16_e32 v81, v27, v40
	v_pack_b32_f16 v65, v73, v75
	v_pack_b32_f16 v66, v76, v79
	;; [unrolled: 1-line block ×5, first 2 shown]
	ds_store_2addr_b32 v62, v67, v64 offset1:17
	ds_store_2addr_b32 v62, v65, v66 offset0:34 offset1:51
	ds_store_2addr_b32 v62, v42, v43 offset0:68 offset1:85
	ds_store_b32 v62, v44 offset:408
	s_and_saveexec_b32 s1, s0
	s_cbranch_execz .LBB0_11
; %bb.10:
	v_mul_f16_e32 v31, 0x2b26, v31
	v_sub_f16_e32 v14, v17, v14
	v_sub_f16_e32 v13, v15, v13
	v_mul_f16_e32 v15, 0xb846, v19
	v_mul_f16_e32 v30, 0x2b26, v30
	v_sub_f16_e32 v10, v12, v10
	v_sub_f16_e32 v9, v11, v9
	v_mul_f16_e32 v11, 0xb846, v18
	v_mul_f16_e32 v41, 0x370e, v41
	v_fma_f16 v17, v14, 0xbb00, -v36
	v_fma_f16 v19, v13, 0xb9e0, -v34
	;; [unrolled: 1-line block ×4, first 2 shown]
	v_mul_f16_e32 v12, 0x370e, v35
	v_fma_f16 v33, v10, 0xb9e0, -v33
	v_fma_f16 v32, v9, 0xbb00, -v32
	;; [unrolled: 1-line block ×4, first 2 shown]
	v_add_f16_e32 v17, v41, v17
	v_add_f16_e32 v18, v19, v39
	;; [unrolled: 1-line block ×9, first 2 shown]
	v_sub_f16_e32 v30, v13, v14
	v_add_f16_e32 v13, v14, v13
	v_sub_f16_e32 v14, v18, v17
	v_mul_u32_u24_e32 v17, 0x77, v55
	v_sub_f16_e32 v18, v40, v27
	v_add_f16_e32 v27, v29, v38
	v_sub_f16_e32 v15, v19, v11
	v_add_f16_e32 v31, v9, v10
	v_add_f16_e32 v11, v11, v19
	v_sub_f16_e32 v9, v10, v9
	v_add_lshl_u32 v10, v17, v54, 2
	v_perm_b32 v8, v16, v8, 0x5040100
	v_pack_b32_f16 v16, v27, v18
	v_pack_b32_f16 v11, v11, v14
	;; [unrolled: 1-line block ×5, first 2 shown]
	v_perm_b32 v14, v81, v28, 0x5040100
	ds_store_2addr_b32 v10, v8, v16 offset1:17
	ds_store_2addr_b32 v10, v11, v9 offset0:34 offset1:51
	ds_store_2addr_b32 v10, v13, v12 offset0:68 offset1:85
	ds_store_b32 v10, v14 offset:408
.LBB0_11:
	s_wait_alu 0xfffe
	s_or_b32 exec_lo, exec_lo, s1
	v_mad_co_u64_u32 v[8:9], null, v48, 48, s[2:3]
	global_wb scope:SCOPE_SE
	s_wait_dscnt 0x0
	s_barrier_signal -1
	s_barrier_wait -1
	global_inv scope:SCOPE_SE
	v_add_nc_u32_e32 v42, 0x800, v47
	v_add_nc_u32_e32 v41, 0x400, v47
	s_clause 0x2
	global_load_b128 v[16:19], v[8:9], off offset:408
	global_load_b128 v[12:15], v[8:9], off offset:424
	global_load_b128 v[8:11], v[8:9], off offset:440
	ds_load_2addr_b32 v[31:32], v47 offset0:119 offset1:238
	ds_load_b32 v35, v47
	ds_load_2addr_b32 v[88:89], v42 offset0:83 offset1:202
	ds_load_2addr_b32 v[38:39], v41 offset0:101 offset1:220
	v_add_nc_u32_e32 v43, 0xc00, v47
	v_add_nc_u32_e32 v44, 0x1000, v47
	;; [unrolled: 1-line block ×3, first 2 shown]
	ds_load_2addr_b32 v[90:91], v43 offset0:65 offset1:184
	ds_load_2addr_b32 v[92:93], v44 offset0:47 offset1:166
	;; [unrolled: 1-line block ×3, first 2 shown]
	s_wait_dscnt 0x6
	v_lshrrev_b32_e32 v40, 16, v31
	v_lshrrev_b32_e32 v46, 16, v32
	s_wait_dscnt 0x4
	v_lshrrev_b32_e32 v96, 16, v88
	v_lshrrev_b32_e32 v97, 16, v89
	;; [unrolled: 1-line block ×3, first 2 shown]
	s_wait_dscnt 0x3
	v_lshrrev_b32_e32 v82, 16, v38
	v_lshrrev_b32_e32 v86, 16, v39
	s_wait_dscnt 0x2
	v_lshrrev_b32_e32 v99, 16, v91
	s_wait_dscnt 0x1
	v_lshrrev_b32_e32 v100, 16, v92
	v_lshrrev_b32_e32 v101, 16, v93
	s_wait_dscnt 0x0
	v_lshrrev_b32_e32 v103, 16, v95
	v_lshrrev_b32_e32 v98, 16, v90
	;; [unrolled: 1-line block ×3, first 2 shown]
	s_wait_loadcnt 0x2
	v_lshrrev_b32_e32 v79, 16, v16
	v_lshrrev_b32_e32 v76, 16, v17
	;; [unrolled: 1-line block ×3, first 2 shown]
	s_wait_loadcnt 0x1
	v_lshrrev_b32_e32 v70, 16, v12
	v_lshrrev_b32_e32 v69, 16, v13
	v_mul_f16_e32 v87, v40, v79
	v_mul_f16_e32 v104, v31, v79
	v_lshrrev_b32_e32 v75, 16, v18
	v_mul_f16_e32 v105, v46, v76
	v_mul_f16_e32 v106, v32, v76
	;; [unrolled: 1-line block ×5, first 2 shown]
	v_fma_f16 v118, v31, v16, -v87
	v_fmac_f16_e32 v104, v40, v16
	s_wait_loadcnt 0x0
	v_lshrrev_b32_e32 v66, 16, v8
	v_lshrrev_b32_e32 v63, 16, v11
	v_mul_f16_e32 v107, v82, v75
	v_mul_f16_e32 v108, v38, v75
	;; [unrolled: 1-line block ×5, first 2 shown]
	v_fma_f16 v105, v32, v17, -v105
	v_fmac_f16_e32 v106, v46, v17
	v_fmac_f16_e32 v85, v86, v19
	v_fma_f16 v86, v88, v12, -v110
	v_fma_f16 v31, v89, v13, -v111
	v_add_f16_e32 v88, v118, v35
	v_add_f16_e32 v89, v104, v83
	v_lshrrev_b32_e32 v67, 16, v15
	v_lshrrev_b32_e32 v65, 16, v9
	;; [unrolled: 1-line block ×3, first 2 shown]
	v_mul_f16_e32 v114, v100, v66
	v_mul_f16_e32 v36, v92, v66
	;; [unrolled: 1-line block ×3, first 2 shown]
	v_fma_f16 v107, v38, v18, -v107
	v_fmac_f16_e32 v108, v82, v18
	v_add_f16_e32 v88, v88, v105
	v_add_f16_e32 v89, v89, v106
	v_lshrrev_b32_e32 v68, 16, v14
	v_mul_f16_e32 v113, v99, v67
	v_mul_f16_e32 v37, v91, v67
	;; [unrolled: 1-line block ×4, first 2 shown]
	v_fma_f16 v87, v39, v19, -v109
	v_fma_f16 v46, v92, v8, -v114
	v_fmac_f16_e32 v36, v100, v8
	v_fmac_f16_e32 v29, v103, v11
	v_add_f16_e32 v88, v88, v107
	v_add_f16_e32 v89, v89, v108
	v_mul_f16_e32 v112, v98, v68
	v_mul_f16_e32 v34, v93, v65
	;; [unrolled: 1-line block ×4, first 2 shown]
	v_fmac_f16_e32 v84, v96, v12
	v_fma_f16 v82, v91, v15, -v113
	v_fmac_f16_e32 v37, v99, v15
	v_fma_f16 v40, v93, v9, -v115
	v_fmac_f16_e32 v33, v102, v10
	v_add_f16_e32 v91, v104, v29
	v_sub_f16_e32 v93, v104, v29
	v_add_f16_e32 v102, v87, v46
	v_add_f16_e32 v103, v85, v36
	v_sub_f16_e32 v104, v87, v46
	v_sub_f16_e32 v109, v85, v36
	v_add_f16_e32 v87, v88, v87
	v_add_f16_e32 v85, v89, v85
	v_mul_f16_e32 v30, v90, v68
	v_fmac_f16_e32 v27, v97, v13
	v_fma_f16 v32, v90, v14, -v112
	v_add_f16_e32 v110, v86, v82
	v_add_f16_e32 v111, v84, v37
	v_sub_f16_e32 v112, v86, v82
	v_sub_f16_e32 v113, v84, v37
	v_add_f16_e32 v86, v87, v86
	v_add_f16_e32 v84, v85, v84
	v_fmac_f16_e32 v30, v98, v14
	v_fma_f16 v38, v95, v11, -v117
	v_fma_f16 v39, v94, v10, -v116
	v_add_f16_e32 v86, v86, v31
	v_add_f16_e32 v84, v84, v27
	v_fmac_f16_e32 v34, v101, v9
	v_sub_f16_e32 v92, v118, v38
	v_add_f16_e32 v90, v118, v38
	v_add_f16_e32 v86, v86, v32
	;; [unrolled: 1-line block ×5, first 2 shown]
	v_sub_f16_e32 v96, v105, v39
	v_sub_f16_e32 v97, v106, v33
	v_mul_f16_e32 v105, 0xb770, v93
	v_mul_f16_e32 v106, 0xb770, v92
	;; [unrolled: 1-line block ×3, first 2 shown]
	v_add_f16_e32 v37, v84, v37
	v_add_f16_e32 v82, v86, v82
	;; [unrolled: 1-line block ×4, first 2 shown]
	v_sub_f16_e32 v100, v107, v40
	v_sub_f16_e32 v101, v108, v34
	v_mul_f16_e32 v114, 0xba95, v93
	v_mul_f16_e32 v116, 0xbbf1, v93
	;; [unrolled: 1-line block ×12, first 2 shown]
	v_fma_f16 v107, v90, 0x3b15, -v105
	v_fmamk_f16 v108, v91, 0x3b15, v106
	v_fma_f16 v160, 0x388b, v91, v115
	v_add_f16_e32 v36, v37, v36
	v_add_f16_e32 v37, v82, v46
	v_mul_f16_e32 v124, 0xbb7b, v97
	v_mul_f16_e32 v126, 0xb3a8, v97
	;; [unrolled: 1-line block ×3, first 2 shown]
	v_mul_f16_e64 v128, 0x394e, v97
	v_mul_f16_e64 v129, 0x394e, v96
	;; [unrolled: 1-line block ×4, first 2 shown]
	v_mul_f16_e32 v97, 0x3770, v97
	v_mul_f16_e32 v96, 0x3770, v96
	v_mul_f16_e64 v133, 0xbbf1, v100
	v_mul_f16_e64 v135, 0xb3a8, v100
	v_fmac_f16_e32 v105, 0x3b15, v90
	v_fma_f16 v106, v91, 0x3b15, -v106
	v_fma_f16 v159, v90, 0x388b, -v114
	v_fmac_f16_e32 v114, 0x388b, v90
	v_fma_f16 v115, v91, 0x388b, -v115
	v_fma_f16 v161, v90, 0x2fb7, -v116
	v_fma_f16 v162, 0x2fb7, v91, v117
	v_fmac_f16_e32 v116, 0x2fb7, v90
	v_fma_f16 v117, v91, 0x2fb7, -v117
	v_fma_f16 v163, v90, 0xb5ac, -v118
	v_fma_f16 v164, 0xb5ac, v91, v119
	;; [unrolled: 4-line block ×4, first 2 shown]
	v_fmac_f16_e32 v93, 0xbbc4, v90
	v_fma_f16 v90, v91, 0xbbc4, -v92
	v_fma_f16 v91, v94, 0x388b, -v122
	v_fmamk_f16 v92, v95, 0x388b, v123
	v_fma_f16 v170, 0xb5ac, v95, v125
	v_add_f16_e32 v88, v107, v35
	v_add_f16_e32 v89, v108, v83
	v_add_f16_e64 v108, v160, v83
	v_add_f16_e32 v34, v36, v34
	v_add_f16_e32 v36, v37, v40
	v_mul_f16_e64 v132, 0xbbf1, v101
	v_mul_f16_e64 v134, 0xb3a8, v101
	;; [unrolled: 1-line block ×8, first 2 shown]
	v_mul_f16_e32 v101, 0xb94e, v101
	v_mul_f16_e32 v100, 0xb94e, v100
	v_mul_f16_e64 v143, 0xbb7b, v104
	v_mul_f16_e64 v145, 0x394e, v104
	v_fmac_f16_e32 v122, 0x388b, v94
	v_fma_f16 v123, v95, 0x388b, -v123
	v_fma_f16 v169, v94, 0xb5ac, -v124
	v_fmac_f16_e32 v124, 0xb5ac, v94
	v_fma_f16 v171, v94, 0xbbc4, -v126
	v_fma_f16 v172, 0xbbc4, v95, v127
	v_fmac_f16_e32 v126, 0xbbc4, v94
	v_fma_f16 v127, v95, 0xbbc4, -v127
	v_fma_f16 v173, v94, 0xb9fd, -v128
	v_fmac_f16_e64 v128, 0xb9fd, v94
	v_fma_f16 v175, v94, 0x2fb7, -v130
	v_fmac_f16_e64 v130, 0x2fb7, v94
	v_fma_f16 v177, v94, 0x3b15, -v97
	v_fma_f16 v178, 0x3b15, v95, v96
	v_fmac_f16_e32 v97, 0x3b15, v94
	v_fma_f16 v94, v95, 0x3b15, -v96
	v_fma_f16 v96, 0x2fb7, v99, v133
	v_fma_f16 v180, 0xbbc4, v99, v135
	v_add_f16_e32 v105, v105, v35
	v_add_f16_e32 v106, v106, v83
	v_add_f16_e64 v107, v159, v35
	v_add_f16_e32 v114, v114, v35
	v_add_f16_e32 v115, v115, v83
	v_add_f16_e64 v159, v161, v35
	v_add_f16_e64 v160, v162, v83
	v_add_f16_e32 v117, v117, v83
	v_add_f16_e64 v161, v163, v35
	v_add_f16_e64 v162, v164, v83
	v_add_f16_e32 v119, v119, v83
	v_add_f16_e64 v164, v166, v83
	v_add_f16_e32 v121, v121, v83
	;; [unrolled: 2-line block ×3, first 2 shown]
	v_add_f16_e32 v85, v91, v88
	v_add_f16_e32 v87, v92, v89
	v_add_f16_e64 v91, v170, v108
	v_add_f16_e32 v33, v34, v33
	v_add_f16_e32 v34, v36, v39
	v_fma_f16 v125, v95, 0xb5ac, -v125
	v_add_f16_e32 v116, v116, v35
	v_mul_f16_e64 v142, 0xbb7b, v109
	v_mul_f16_e64 v144, 0x394e, v109
	;; [unrolled: 1-line block ×8, first 2 shown]
	v_mul_f16_e32 v109, 0x3a95, v109
	v_mul_f16_e32 v104, 0x3a95, v104
	v_mul_f16_e64 v153, 0xb94e, v112
	v_mul_f16_e64 v155, 0x3bf1, v112
	v_fma_f16 v174, 0xb9fd, v95, v129
	v_fma_f16 v129, v95, 0xb9fd, -v129
	v_fma_f16 v176, 0x2fb7, v95, v131
	v_fma_f16 v131, v95, 0x2fb7, -v131
	v_fma_f16 v95, v98, 0x2fb7, -v132
	v_fmac_f16_e64 v132, 0x2fb7, v98
	v_fma_f16 v179, v98, 0xbbc4, -v134
	v_fmac_f16_e64 v134, 0xbbc4, v98
	v_fma_f16 v181, v98, 0xb5ac, -v136
	v_fma_f16 v182, 0xb5ac, v99, v137
	v_fmac_f16_e64 v136, 0xb5ac, v98
	v_fma_f16 v137, v99, 0xb5ac, -v137
	v_fma_f16 v183, v98, 0x3b15, -v138
	v_fmac_f16_e64 v138, 0x3b15, v98
	v_fma_f16 v185, v98, 0x388b, -v140
	v_fmac_f16_e64 v140, 0x388b, v98
	v_fma_f16 v187, v98, 0xb9fd, -v101
	v_fma_f16 v188, 0xb9fd, v99, v100
	v_fmac_f16_e32 v101, 0xb9fd, v98
	v_fma_f16 v98, v99, 0xb9fd, -v100
	v_fma_f16 v100, 0xb5ac, v103, v143
	v_fma_f16 v190, 0xb9fd, v103, v145
	v_add_f16_e32 v118, v118, v35
	v_add_f16_e64 v163, v165, v35
	v_add_f16_e32 v120, v120, v35
	v_add_f16_e64 v165, v167, v35
	v_add_f16_e32 v35, v93, v35
	v_add_f16_e32 v88, v122, v105
	;; [unrolled: 1-line block ×3, first 2 shown]
	v_add_f16_e64 v90, v169, v107
	v_add_f16_e32 v92, v124, v114
	v_add_f16_e64 v105, v171, v159
	v_add_f16_e64 v106, v172, v160
	v_add_f16_e32 v108, v127, v117
	v_add_f16_e64 v114, v173, v161
	v_add_f16_e32 v83, v94, v83
	v_add_f16_e32 v87, v96, v87
	v_add_f16_e64 v91, v180, v91
	v_add_f16_e32 v29, v33, v29
	v_add_f16_e32 v33, v34, v38
	v_fma_f16 v133, v99, 0x2fb7, -v133
	v_fma_f16 v135, v99, 0xbbc4, -v135
	v_add_f16_e32 v93, v125, v115
	v_add_f16_e32 v107, v126, v116
	v_mul_f16_e64 v152, 0xb94e, v113
	v_mul_f16_e64 v154, 0x3bf1, v113
	v_mul_f16_e64 v156, 0xba95, v113
	v_mul_f16_e64 v157, 0xba95, v112
	v_mul_f16_e64 v158, 0x33a8, v113
	v_fma_f16 v184, 0x3b15, v99, v139
	v_fma_f16 v139, v99, 0x3b15, -v139
	v_fma_f16 v186, 0x388b, v99, v141
	v_fma_f16 v141, v99, 0x388b, -v141
	v_fma_f16 v99, v102, 0xb5ac, -v142
	v_fmac_f16_e64 v142, 0xb5ac, v102
	v_fma_f16 v189, v102, 0xb9fd, -v144
	v_fmac_f16_e64 v144, 0xb9fd, v102
	v_fma_f16 v191, v102, 0x3b15, -v146
	v_fma_f16 v192, 0x3b15, v103, v147
	v_fmac_f16_e64 v146, 0x3b15, v102
	v_fma_f16 v147, v103, 0x3b15, -v147
	v_fma_f16 v193, v102, 0x2fb7, -v148
	v_fmac_f16_e64 v148, 0x2fb7, v102
	v_fma_f16 v195, v102, 0xbbc4, -v150
	v_fmac_f16_e64 v150, 0xbbc4, v102
	v_fma_f16 v197, v102, 0x388b, -v109
	v_fma_f16 v198, 0x388b, v103, v104
	v_fmac_f16_e32 v109, 0x388b, v102
	v_fma_f16 v102, v103, 0x388b, -v104
	v_fma_f16 v104, 0xb9fd, v111, v153
	v_fma_f16 v200, 0x2fb7, v111, v155
	v_add_f16_e64 v115, v174, v162
	v_add_f16_e64 v116, v128, v118
	;; [unrolled: 1-line block ×3, first 2 shown]
	v_add_f16_e32 v35, v97, v35
	v_add_f16_e32 v85, v95, v85
	v_add_f16_e64 v88, v132, v88
	v_add_f16_e64 v90, v179, v90
	;; [unrolled: 1-line block ×7, first 2 shown]
	v_add_f16_e32 v83, v98, v83
	v_add_f16_e32 v87, v100, v87
	v_add_f16_e64 v91, v190, v91
	v_lshlrev_b32_e32 v29, 16, v29
	v_and_b32_e32 v33, 0xffff, v33
	v_fma_f16 v143, v103, 0xb5ac, -v143
	v_fma_f16 v145, v103, 0xb9fd, -v145
	v_add_f16_e64 v89, v133, v89
	v_add_f16_e64 v93, v135, v93
	;; [unrolled: 1-line block ×3, first 2 shown]
	v_fma_f16 v194, 0x2fb7, v103, v149
	v_fma_f16 v149, v103, 0x2fb7, -v149
	v_fma_f16 v196, 0xbbc4, v103, v151
	v_fma_f16 v151, v103, 0xbbc4, -v151
	v_fma_f16 v103, v110, 0xb9fd, -v152
	v_fmac_f16_e64 v152, 0xb9fd, v110
	v_fma_f16 v199, v110, 0x2fb7, -v154
	v_fmac_f16_e64 v154, 0x2fb7, v110
	v_fma_f16 v201, v110, 0x388b, -v156
	v_fma_f16 v202, 0x388b, v111, v157
	v_fma_f16 v157, v111, 0x388b, -v157
	v_add_f16_e64 v119, v176, v164
	v_add_f16_e64 v106, v184, v115
	;; [unrolled: 1-line block ×4, first 2 shown]
	v_add_f16_e32 v85, v99, v85
	v_add_f16_e64 v88, v142, v88
	v_add_f16_e64 v90, v189, v90
	;; [unrolled: 1-line block ×7, first 2 shown]
	v_add_f16_e32 v36, v102, v83
	v_add_f16_e32 v83, v104, v87
	v_add_f16_e64 v87, v200, v91
	v_or_b32_e32 v29, v29, v33
	v_fma_f16 v33, v110, 0xbbc4, -v158
	v_mul_f16_e32 v91, 0x33a8, v112
	v_fma_f16 v153, v111, 0xb9fd, -v153
	v_fma_f16 v155, v111, 0x2fb7, -v155
	v_fmac_f16_e64 v156, 0x388b, v110
	v_add_f16_e64 v118, v175, v163
	v_add_f16_e64 v89, v143, v89
	;; [unrolled: 1-line block ×9, first 2 shown]
	v_add_f16_e32 v39, v103, v85
	v_add_f16_e64 v34, v152, v88
	v_add_f16_e64 v85, v199, v90
	;; [unrolled: 1-line block ×6, first 2 shown]
	v_add_f16_e32 v95, v33, v98
	v_fmamk_f16 v33, v111, 0xbbc4, v91
	v_fmac_f16_e64 v158, 0xbbc4, v110
	v_mul_f16_e32 v97, 0x3770, v112
	v_fma_f16 v91, v111, 0xbbc4, -v91
	v_add_f16_e64 v121, v131, v121
	v_add_f16_e64 v114, v185, v118
	;; [unrolled: 1-line block ×5, first 2 shown]
	v_mul_f16_e32 v96, 0x3770, v113
	v_add_f16_e64 v118, v187, v122
	v_add_f16_e64 v46, v196, v115
	v_add_f16_e32 v98, v33, v99
	v_add_f16_e64 v99, v158, v84
	v_fmamk_f16 v84, v111, 0x3b15, v97
	v_add_f16_e32 v91, v91, v86
	v_mul_f16_e32 v86, 0xbb7b, v113
	v_add_f16_e64 v123, v178, v166
	v_add_f16_e64 v117, v141, v121
	;; [unrolled: 1-line block ×3, first 2 shown]
	v_fma_f16 v33, v110, 0x3b15, -v96
	v_add_f16_e64 v37, v197, v118
	v_add_f16_e32 v46, v84, v46
	v_fma_f16 v84, v110, 0xb5ac, -v86
	v_sub_f16_e32 v102, v27, v30
	v_add_f16_e64 v119, v188, v123
	v_add_f16_e32 v35, v101, v35
	v_add_f16_e64 v101, v151, v117
	v_add_f16_e32 v100, v33, v100
	v_fma_f16 v33, v111, 0x3b15, -v97
	v_mul_f16_e32 v97, 0xbb7b, v112
	v_add_f16_e32 v103, v84, v37
	v_add_f16_e32 v104, v31, v32
	v_mul_f16_e32 v37, 0xb3a8, v102
	v_sub_f16_e32 v105, v31, v32
	v_add_f16_e64 v120, v130, v120
	v_add_f16_e64 v40, v198, v119
	v_add_f16_e32 v101, v33, v101
	v_fmamk_f16 v33, v111, 0xb5ac, v97
	v_fma_f16 v31, v111, 0xb5ac, -v97
	v_add_f16_e32 v97, v27, v30
	v_fma_f16 v27, v104, 0xbbc4, -v37
	v_mul_f16_e32 v32, 0xb3a8, v105
	v_add_f16_e64 v116, v140, v120
	v_add_f16_e32 v35, v109, v35
	v_fmac_f16_e32 v86, 0xb5ac, v110
	v_add_f16_e32 v40, v33, v40
	v_mul_f16_e32 v33, 0x3770, v102
	v_add_f16_e32 v107, v31, v36
	v_add_f16_e32 v30, v27, v39
	v_fmamk_f16 v27, v97, 0xbbc4, v32
	v_fmac_f16_e32 v37, 0xbbc4, v104
	v_fma_f16 v31, v97, 0xbbc4, -v32
	v_mul_f16_e32 v32, 0x3770, v105
	v_add_f16_e64 v82, v150, v116
	v_fmac_f16_e32 v96, 0x3b15, v110
	v_add_f16_e32 v106, v86, v35
	v_fma_f16 v35, v104, 0x3b15, -v33
	v_mul_f16_e32 v36, 0xb94e, v102
	v_add_f16_e32 v86, v27, v83
	v_add_f16_e32 v27, v37, v34
	v_fmamk_f16 v34, v97, 0x3b15, v32
	v_fmac_f16_e32 v33, 0x3b15, v104
	v_mul_f16_e32 v37, 0xb94e, v105
	v_add_f16_e32 v96, v96, v82
	v_add_f16_e32 v82, v31, v38
	;; [unrolled: 1-line block ×3, first 2 shown]
	v_fma_f16 v32, v97, 0x3b15, -v32
	v_fma_f16 v35, v104, 0xb9fd, -v36
	v_mul_f16_e32 v38, 0x3a95, v102
	v_add_f16_e32 v85, v34, v87
	v_add_f16_e32 v34, v33, v88
	v_fmamk_f16 v33, v97, 0xb9fd, v37
	v_fmac_f16_e32 v36, 0xb9fd, v104
	v_mul_f16_e32 v39, 0x3a95, v105
	v_add_f16_e32 v83, v32, v89
	v_add_f16_e32 v32, v35, v90
	v_fma_f16 v35, v97, 0xb9fd, -v37
	v_fma_f16 v37, v104, 0x388b, -v38
	v_add_f16_e32 v88, v33, v92
	v_add_f16_e32 v33, v36, v93
	v_fmamk_f16 v36, v97, 0x388b, v39
	v_fma_f16 v39, v97, 0x388b, -v39
	v_mul_f16_e32 v90, 0xbb7b, v105
	v_add_f16_e32 v84, v35, v94
	v_add_f16_e32 v35, v37, v95
	v_mul_f16_e32 v37, 0xbb7b, v102
	v_add_f16_e32 v87, v39, v91
	v_fmamk_f16 v39, v97, 0xb5ac, v90
	v_mul_f16_e32 v92, 0x3bf1, v102
	v_mul_f16_e32 v93, 0x3bf1, v105
	v_add_f16_e32 v89, v36, v98
	v_fma_f16 v36, v104, 0xb5ac, -v37
	v_add_f16_e32 v91, v39, v46
	v_fma_f16 v39, v97, 0xb5ac, -v90
	v_fma_f16 v46, v104, 0x2fb7, -v92
	v_fmamk_f16 v94, v97, 0x2fb7, v93
	v_fmac_f16_e32 v92, 0x2fb7, v104
	v_fma_f16 v95, v97, 0x2fb7, -v93
	v_fmac_f16_e32 v38, 0x388b, v104
	v_fmac_f16_e32 v37, 0xb5ac, v104
	v_add_f16_e32 v36, v36, v100
	v_add_f16_e32 v90, v39, v101
	;; [unrolled: 1-line block ×8, first 2 shown]
	v_add_nc_u32_e32 v46, 0x600, v47
	v_add_nc_u32_e32 v94, 0xe00, v47
	v_pack_b32_f16 v95, v30, v86
	v_pack_b32_f16 v96, v31, v85
	v_pack_b32_f16 v97, v32, v88
	v_add_nc_u32_e32 v98, 0x200, v47
	v_pack_b32_f16 v99, v35, v89
	v_pack_b32_f16 v100, v36, v91
	v_pack_b32_f16 v101, v39, v93
	v_pack_b32_f16 v102, v40, v92
	v_add_nc_u32_e32 v103, 0xa00, v47
	v_pack_b32_f16 v104, v37, v90
	;; [unrolled: 5-line block ×3, first 2 shown]
	ds_store_b32 v47, v29
	ds_store_b32 v47, v95 offset:476
	ds_store_2addr_b32 v98, v96, v97 offset0:110 offset1:229
	ds_store_2addr_b32 v46, v99, v100 offset0:92 offset1:211
	;; [unrolled: 1-line block ×5, first 2 shown]
	ds_store_b32 v47, v109 offset:5712
	global_wb scope:SCOPE_SE
	s_wait_dscnt 0x0
	s_barrier_signal -1
	s_barrier_wait -1
	global_inv scope:SCOPE_SE
	s_and_saveexec_b32 s1, vcc_lo
	s_cbranch_execz .LBB0_13
; %bb.12:
	global_load_b32 v95, v47, s[12:13] offset:6188
	s_add_nc_u64 s[2:3], s[12:13], 0x182c
	s_clause 0xf
	global_load_b32 v111, v47, s[2:3] offset:364
	global_load_b32 v112, v47, s[2:3] offset:728
	;; [unrolled: 1-line block ×16, first 2 shown]
	ds_load_b32 v96, v47
	s_wait_dscnt 0x0
	v_lshrrev_b32_e32 v97, 16, v96
	s_wait_loadcnt 0xf
	v_lshrrev_b32_e32 v127, 16, v111
	s_wait_loadcnt 0xe
	;; [unrolled: 2-line block ×12, first 2 shown]
	v_lshrrev_b32_e32 v138, 16, v122
	v_lshrrev_b32_e32 v98, 16, v95
	s_wait_loadcnt 0x3
	v_lshrrev_b32_e32 v139, 16, v123
	s_wait_loadcnt 0x2
	;; [unrolled: 2-line block ×4, first 2 shown]
	v_lshrrev_b32_e32 v142, 16, v126
	v_mul_f16_e32 v99, v97, v98
	v_mul_f16_e32 v98, v96, v98
	s_delay_alu instid0(VALU_DEP_2) | instskip(NEXT) | instid1(VALU_DEP_2)
	v_fma_f16 v96, v96, v95, -v99
	v_fmac_f16_e32 v98, v97, v95
	s_delay_alu instid0(VALU_DEP_1)
	v_pack_b32_f16 v95, v96, v98
	ds_store_b32 v47, v95
	ds_load_2addr_b32 v[95:96], v47 offset0:91 offset1:182
	ds_load_2addr_b32 v[97:98], v41 offset0:17 offset1:108
	;; [unrolled: 1-line block ×8, first 2 shown]
	s_wait_dscnt 0x7
	v_lshrrev_b32_e32 v143, 16, v95
	v_lshrrev_b32_e32 v145, 16, v96
	s_wait_dscnt 0x6
	v_lshrrev_b32_e32 v147, 16, v97
	v_lshrrev_b32_e32 v149, 16, v98
	;; [unrolled: 3-line block ×5, first 2 shown]
	v_mul_f16_e64 v144, v95, v127
	v_mul_f16_e64 v146, v96, v128
	s_wait_dscnt 0x2
	v_lshrrev_b32_e32 v163, 16, v105
	v_lshrrev_b32_e32 v165, 16, v106
	s_wait_dscnt 0x1
	v_lshrrev_b32_e32 v167, 16, v107
	v_lshrrev_b32_e32 v169, 16, v108
	s_wait_dscnt 0x0
	v_lshrrev_b32_e32 v171, 16, v109
	v_lshrrev_b32_e32 v173, 16, v110
	v_mul_f16_e64 v127, v143, v127
	v_mul_f16_e64 v128, v145, v128
	;; [unrolled: 1-line block ×24, first 2 shown]
	v_fmac_f16_e64 v144, v143, v111
	v_fmac_f16_e64 v146, v145, v112
	v_mul_f16_e64 v137, v163, v137
	v_mul_f16_e64 v138, v165, v138
	;; [unrolled: 1-line block ×6, first 2 shown]
	v_fma_f16 v95, v95, v111, -v127
	v_fma_f16 v96, v96, v112, -v128
	v_fmac_f16_e64 v148, v147, v113
	v_fmac_f16_e64 v150, v149, v114
	v_fma_f16 v97, v97, v113, -v129
	v_fma_f16 v98, v98, v114, -v130
	v_fmac_f16_e64 v152, v151, v115
	v_fmac_f16_e64 v154, v153, v116
	;; [unrolled: 4-line block ×5, first 2 shown]
	v_fmac_f16_e64 v168, v167, v123
	v_fmac_f16_e64 v170, v169, v124
	;; [unrolled: 1-line block ×4, first 2 shown]
	v_fma_f16 v105, v105, v121, -v137
	v_fma_f16 v106, v106, v122, -v138
	;; [unrolled: 1-line block ×6, first 2 shown]
	v_pack_b32_f16 v95, v95, v144
	v_pack_b32_f16 v96, v96, v146
	;; [unrolled: 1-line block ×16, first 2 shown]
	ds_store_2addr_b32 v47, v95, v96 offset0:91 offset1:182
	ds_store_2addr_b32 v41, v97, v98 offset0:17 offset1:108
	;; [unrolled: 1-line block ×8, first 2 shown]
.LBB0_13:
	s_wait_alu 0xfffe
	s_or_b32 exec_lo, exec_lo, s1
	global_wb scope:SCOPE_SE
	s_wait_dscnt 0x0
	s_barrier_signal -1
	s_barrier_wait -1
	global_inv scope:SCOPE_SE
	s_and_saveexec_b32 s1, vcc_lo
	s_cbranch_execz .LBB0_15
; %bb.14:
	v_add_nc_u32_e32 v21, 0x200, v47
	v_add_nc_u32_e32 v22, 0x400, v47
	v_add_nc_u32_e32 v27, 0x800, v47
	ds_load_2addr_b32 v[29:30], v47 offset1:91
	ds_load_2addr_b32 v[31:32], v21 offset0:54 offset1:145
	v_add_nc_u32_e32 v21, 0xa00, v47
	ds_load_2addr_b32 v[35:36], v22 offset0:108 offset1:199
	v_add_nc_u32_e32 v22, 0xc00, v47
	;; [unrolled: 2-line block ×4, first 2 shown]
	ds_load_2addr_b32 v[33:34], v22 offset0:142 offset1:233
	ds_load_2addr_b32 v[27:28], v27 offset0:68 offset1:159
	;; [unrolled: 1-line block ×3, first 2 shown]
	ds_load_b32 v50, v47 offset:5824
	s_wait_dscnt 0x8
	v_lshrrev_b32_e32 v86, 16, v30
	s_wait_dscnt 0x7
	v_lshrrev_b32_e32 v85, 16, v31
	v_lshrrev_b32_e32 v88, 16, v32
	s_wait_dscnt 0x6
	v_lshrrev_b32_e32 v89, 16, v35
	;; [unrolled: 3-line block ×8, first 2 shown]
.LBB0_15:
	s_wait_alu 0xfffe
	s_or_b32 exec_lo, exec_lo, s1
	s_delay_alu instid0(VALU_DEP_1)
	v_sub_f16_e32 v111, v86, v51
	v_add_f16_e32 v114, v51, v86
	v_add_f16_e32 v94, v50, v30
	v_sub_f16_e32 v96, v30, v50
	v_lshrrev_b32_e32 v95, 16, v29
	v_mul_f16_e32 v44, 0xb836, v111
	v_mul_f16_e64 v141, 0xb8d2, v114
	v_mul_f16_e32 v99, 0xbacd, v114
	v_mul_f16_e32 v126, 0xbbf7, v111
	v_mul_f16_e32 v102, 0xbbdd, v114
	v_fmamk_f16 v98, v94, 0xbacd, v44
	v_fma_f16 v97, 0xba62, v96, v141
	v_sub_f16_e32 v115, v85, v52
	v_mul_f16_e64 v129, 0x2de8, v114
	v_mul_f16_e64 v131, 0xbbb2, v111
	v_add_f16_e32 v101, v98, v29
	v_add_f16_e32 v100, v97, v95
	v_fmamk_f16 v97, v96, 0x3836, v99
	v_mul_f16_e32 v98, 0xb1e1, v111
	v_fma_f16 v41, v94, 0x2de8, -v126
	v_fmamk_f16 v104, v96, 0x31e1, v102
	v_add_f16_e32 v118, v52, v85
	v_add_f16_e32 v103, v97, v95
	v_fmamk_f16 v97, v94, 0xbbdd, v98
	v_mul_f16_e64 v132, 0xb1e1, v115
	v_mul_f16_e64 v134, 0xb461, v114
	v_fma_f16 v42, 0xbbf7, v96, v129
	v_mul_f16_e64 v138, 0xba62, v111
	v_add_f16_e32 v105, v97, v29
	v_add_f16_e32 v97, v22, v31
	v_fma_f16 v43, v94, 0xb461, -v131
	v_add_f16_e32 v41, v41, v29
	v_add_f16_e32 v106, v104, v95
	v_fma_f16 v104, v94, 0xbbdd, -v98
	v_sub_f16_e32 v98, v31, v22
	v_mul_f16_e64 v135, 0xbbdd, v118
	v_fma_f16 v107, v97, 0xbbdd, -v132
	v_mul_f16_e64 v139, 0x3836, v115
	v_add_f16_e32 v42, v42, v95
	v_add_f16_e32 v43, v43, v29
	v_fma_f16 v45, 0xbbb2, v96, v134
	v_fma_f16 v46, v94, 0xb8d2, -v138
	v_add_f16_e32 v108, v104, v29
	v_fma_f16 v104, 0xb1e1, v98, v135
	v_add_f16_e32 v41, v107, v41
	v_mul_f16_e64 v143, 0xbacd, v118
	v_fma_f16 v107, v97, 0xbacd, -v139
	v_mul_f16_e64 v147, 0x3bb2, v115
	v_mul_f16_e64 v150, 0xb461, v118
	v_add_f16_e32 v45, v45, v95
	v_add_f16_e32 v46, v46, v29
	v_fma_f16 v44, v94, 0xbacd, -v44
	v_add_f16_e32 v42, v104, v42
	v_fma_f16 v104, 0x3836, v98, v143
	v_add_f16_e32 v43, v107, v43
	v_fma_f16 v107, v97, 0xb461, -v147
	v_mul_f16_e32 v109, 0x3b29, v115
	v_fma_f16 v110, 0x3bb2, v98, v150
	v_add_f16_e32 v44, v44, v29
	v_add_f16_e32 v45, v104, v45
	v_mul_f16_e32 v104, 0x3722, v118
	v_add_f16_e32 v46, v107, v46
	v_fmamk_f16 v107, v97, 0x3722, v109
	v_add_f16_e32 v100, v110, v100
	v_mul_f16_e32 v110, 0x35c8, v115
	v_fma_f16 v109, v97, 0x3722, -v109
	v_fmac_f16_e32 v99, 0xb836, v96
	v_fmac_f16_e32 v102, 0xb1e1, v96
	v_fmamk_f16 v112, v98, 0xbb29, v104
	v_add_f16_e32 v107, v107, v101
	v_fmamk_f16 v101, v97, 0x3b76, v110
	v_add_f16_e32 v44, v109, v44
	v_mul_f16_e32 v109, 0x3b76, v118
	v_sub_f16_e32 v119, v88, v53
	v_add_f16_e32 v99, v99, v95
	v_add_f16_e32 v102, v102, v95
	v_fmac_f16_e32 v104, 0x3b29, v98
	v_add_f16_e32 v103, v112, v103
	v_add_f16_e32 v105, v101, v105
	;; [unrolled: 1-line block ×3, first 2 shown]
	v_fmamk_f16 v112, v98, 0xb5c8, v109
	v_add_f16_e32 v101, v21, v32
	v_mul_f16_e64 v140, 0x3bb2, v119
	v_fmac_f16_e32 v109, 0x35c8, v98
	v_mul_f16_e64 v148, 0x3964, v119
	v_add_f16_e32 v99, v104, v99
	v_sub_f16_e32 v104, v32, v21
	v_mul_f16_e64 v142, 0xb461, v122
	v_add_f16_e32 v106, v112, v106
	v_fma_f16 v112, v101, 0xb461, -v140
	v_add_f16_e32 v102, v109, v102
	v_fma_f16 v109, v101, 0x39e9, -v148
	v_mul_f16_e64 v151, 0x39e9, v122
	v_mul_f16_e64 v155, 0xb5c8, v119
	v_fma_f16 v110, v97, 0x3b76, -v110
	v_fma_f16 v113, 0x3bb2, v104, v142
	v_add_f16_e32 v41, v112, v41
	v_mul_f16_e64 v158, 0x3b76, v122
	v_add_f16_e32 v43, v109, v43
	v_fma_f16 v109, 0x3964, v104, v151
	v_fma_f16 v112, v101, 0x3b76, -v155
	v_mul_f16_e32 v117, 0x2de8, v122
	v_add_f16_e32 v108, v110, v108
	v_add_f16_e32 v42, v113, v42
	v_mul_f16_e32 v110, 0xbbf7, v119
	v_fma_f16 v113, 0xb5c8, v104, v158
	v_add_f16_e32 v45, v109, v45
	v_add_f16_e32 v46, v112, v46
	v_fmamk_f16 v109, v104, 0x3bf7, v117
	v_mul_f16_e32 v112, 0xb836, v119
	v_fmamk_f16 v116, v101, 0x2de8, v110
	v_add_f16_e32 v100, v113, v100
	v_mul_f16_e32 v113, 0xbacd, v122
	v_fma_f16 v110, v101, 0x2de8, -v110
	v_add_f16_e32 v103, v109, v103
	v_fmamk_f16 v109, v101, 0xbacd, v112
	v_sub_f16_e32 v123, v89, v81
	v_add_f16_e32 v127, v81, v89
	v_add_f16_e32 v107, v116, v107
	v_fmamk_f16 v116, v104, 0x3836, v113
	v_add_f16_e32 v44, v110, v44
	v_add_f16_e32 v105, v109, v105
	;; [unrolled: 1-line block ×3, first 2 shown]
	v_mul_f16_e64 v146, 0x35c8, v123
	v_fma_f16 v112, v101, 0xbacd, -v112
	v_fmac_f16_e32 v113, 0xb836, v104
	v_sub_f16_e32 v110, v35, v28
	v_mul_f16_e64 v149, 0x3b76, v127
	v_mul_f16_e64 v153, 0xbb29, v123
	v_add_f16_e32 v106, v116, v106
	v_fma_f16 v116, v109, 0x3b76, -v146
	v_add_f16_e32 v108, v112, v108
	v_add_f16_e32 v102, v113, v102
	v_fma_f16 v112, 0x35c8, v110, v149
	v_mul_f16_e64 v157, 0x3722, v127
	v_fma_f16 v113, v109, 0x3722, -v153
	v_mul_f16_e64 v159, 0xb836, v123
	v_fmac_f16_e32 v117, 0xbbf7, v104
	v_add_f16_e32 v41, v116, v41
	v_add_f16_e32 v42, v112, v42
	v_mul_f16_e64 v162, 0xbacd, v127
	v_fma_f16 v112, 0xbb29, v110, v157
	v_add_f16_e32 v43, v113, v43
	v_fma_f16 v113, v109, 0xbacd, -v159
	v_mul_f16_e32 v116, 0x3a62, v123
	v_add_f16_e32 v99, v117, v99
	v_fma_f16 v117, 0xb836, v110, v162
	v_add_f16_e32 v45, v112, v45
	v_mul_f16_e32 v112, 0xb8d2, v127
	v_add_f16_e32 v46, v113, v46
	v_fmamk_f16 v113, v109, 0xb8d2, v116
	v_fma_f16 v116, v109, 0xb8d2, -v116
	v_add_f16_e32 v100, v117, v100
	v_mul_f16_e32 v117, 0x3964, v123
	v_fmamk_f16 v120, v110, 0xba62, v112
	v_fmac_f16_e32 v112, 0x3a62, v110
	v_add_f16_e32 v44, v116, v44
	v_mul_f16_e32 v116, 0x39e9, v127
	v_sub_f16_e64 v128, v91, v82
	v_add_f16_e32 v107, v113, v107
	v_fmamk_f16 v113, v109, 0x39e9, v117
	v_add_f16_e32 v103, v120, v103
	v_add_f16_e32 v99, v112, v99
	v_add_f16_e64 v133, v82, v91
	v_fmamk_f16 v120, v110, 0xb964, v116
	v_add_f16_e32 v112, v27, v36
	v_mul_f16_e64 v154, 0xbb29, v128
	v_fmac_f16_e32 v116, 0x3964, v110
	v_mul_f16_e64 v161, 0xb1e1, v128
	v_add_f16_e32 v105, v113, v105
	v_sub_f16_e32 v113, v36, v27
	v_mul_f16_e64 v156, 0x3722, v133
	v_add_f16_e32 v106, v120, v106
	v_fma_f16 v120, v112, 0x3722, -v154
	v_add_f16_e32 v102, v116, v102
	v_fma_f16 v116, v112, 0xbbdd, -v161
	v_mul_f16_e64 v164, 0xbbdd, v133
	v_mul_f16_e64 v166, 0x3bf7, v128
	v_fma_f16 v117, v109, 0x39e9, -v117
	v_fma_f16 v121, 0xbb29, v113, v156
	v_add_f16_e32 v41, v120, v41
	v_mul_f16_e64 v169, 0x2de8, v133
	v_add_f16_e32 v43, v116, v43
	v_fma_f16 v116, 0xb1e1, v113, v164
	v_fma_f16 v120, v112, 0x2de8, -v166
	v_mul_f16_e64 v125, 0x3b76, v133
	v_add_f16_e32 v108, v117, v108
	v_add_f16_e32 v42, v121, v42
	v_mul_f16_e64 v117, 0xb5c8, v128
	v_fma_f16 v121, 0x3bf7, v113, v169
	v_add_f16_e32 v45, v116, v45
	v_add_f16_e32 v46, v120, v46
	v_fmamk_f16 v116, v113, 0x35c8, v125
	v_mul_f16_e64 v120, 0xba62, v128
	v_fmamk_f16 v124, v112, 0x3b76, v117
	v_add_f16_e32 v100, v121, v100
	v_mul_f16_e64 v121, 0xb8d2, v133
	v_fma_f16 v117, v112, 0x3b76, -v117
	v_add_f16_e32 v103, v116, v103
	v_fmamk_f16 v116, v112, 0xb8d2, v120
	v_sub_f16_e64 v130, v93, v83
	v_add_f16_e64 v137, v83, v93
	v_add_f16_e32 v107, v124, v107
	v_fmamk_f16 v124, v113, 0x3a62, v121
	v_add_f16_e32 v44, v117, v44
	v_add_f16_e32 v105, v116, v105
	;; [unrolled: 1-line block ×3, first 2 shown]
	v_mul_f16_e64 v160, 0xb836, v130
	v_fma_f16 v120, v112, 0xb8d2, -v120
	v_fmac_f16_e32 v121, 0xba62, v113
	v_sub_f16_e32 v117, v39, v34
	v_mul_f16_e64 v163, 0xbacd, v137
	v_mul_f16_e64 v167, 0x3bf7, v130
	v_fmac_f16_e32 v125, 0xb5c8, v113
	v_add_f16_e32 v106, v124, v106
	v_fma_f16 v124, v116, 0xbacd, -v160
	v_add_f16_e32 v108, v120, v108
	v_add_f16_e32 v102, v121, v102
	v_fma_f16 v120, 0xb836, v117, v163
	v_mul_f16_e64 v170, 0x2de8, v137
	v_fma_f16 v121, v116, 0x2de8, -v167
	v_mul_f16_e64 v173, 0xb964, v130
	v_mul_f16_e64 v176, 0x39e9, v137
	v_add_f16_e32 v99, v125, v99
	v_add_f16_e32 v41, v124, v41
	;; [unrolled: 1-line block ×3, first 2 shown]
	v_fma_f16 v120, 0x3bf7, v117, v170
	v_add_f16_e32 v43, v121, v43
	v_fma_f16 v121, v116, 0x39e9, -v173
	v_mul_f16_e64 v124, 0xb1e1, v130
	v_fma_f16 v125, 0xb964, v117, v176
	v_add_f16_e32 v45, v120, v45
	v_mul_f16_e64 v120, 0xbbdd, v137
	v_add_f16_e32 v46, v121, v46
	v_fmamk_f16 v121, v116, 0xbbdd, v124
	v_add_f16_e32 v100, v125, v100
	v_mul_f16_e64 v125, 0x3b29, v130
	v_fma_f16 v136, 0x31e1, v117, v120
	v_fma_f16 v124, v116, 0xbbdd, -v124
	v_add_f16_e32 v107, v121, v107
	v_add_f16_e64 v145, v84, v92
	v_fmamk_f16 v121, v116, 0x3722, v125
	v_fmac_f16_e32 v120, 0xb1e1, v117
	v_add_f16_e64 v103, v136, v103
	v_add_f16_e32 v44, v124, v44
	v_mul_f16_e64 v124, 0x3722, v137
	v_add_f16_e32 v105, v121, v105
	v_sub_f16_e64 v136, v92, v84
	v_sub_f16_e32 v121, v40, v33
	v_mul_f16_e64 v168, 0xb8d2, v145
	v_add_f16_e32 v99, v120, v99
	v_fma_f16 v144, 0xbb29, v117, v124
	v_add_f16_e32 v120, v33, v40
	v_mul_f16_e64 v165, 0x3a62, v136
	v_fma_f16 v152, 0x3a62, v121, v168
	v_mul_f16_e64 v172, 0xb5c8, v136
	v_add_f16_e64 v106, v144, v106
	v_fma_f16 v125, v116, 0x3722, -v125
	v_fmac_f16_e32 v124, 0x3b29, v117
	v_fma_f16 v144, v120, 0xb8d2, -v165
	v_add_f16_e64 v181, v152, v42
	v_fma_f16 v42, v120, 0x3b76, -v172
	v_mul_f16_e64 v175, 0x3b76, v145
	v_mul_f16_e64 v178, 0xb1e1, v136
	;; [unrolled: 1-line block ×3, first 2 shown]
	v_add_f16_e32 v108, v125, v108
	v_add_f16_e32 v102, v124, v102
	v_add_f16_e64 v41, v144, v41
	v_mul_f16_e64 v124, 0x3964, v136
	v_add_f16_e32 v43, v42, v43
	v_fma_f16 v42, 0xb5c8, v121, v175
	v_fma_f16 v125, v120, 0xbbdd, -v178
	v_fma_f16 v144, 0xb1e1, v121, v179
	v_mul_f16_e64 v171, 0x39e9, v145
	v_fma_f16 v152, 0x39e9, v120, v124
	v_add_f16_e32 v45, v42, v45
	v_add_f16_e32 v46, v125, v46
	v_add_f16_e64 v100, v144, v100
	v_fma_f16 v42, 0xb964, v121, v171
	v_mul_f16_e64 v125, 0xbbb2, v136
	v_fma_f16 v124, v120, 0x39e9, -v124
	v_fmac_f16_e64 v171, 0x3964, v121
	v_sub_f16_e64 v144, v90, v87
	v_add_f16_e64 v107, v152, v107
	v_mul_f16_e64 v180, 0xb461, v145
	v_add_f16_e64 v183, v42, v103
	v_fmamk_f16 v42, v120, 0xb461, v125
	v_add_f16_e64 v184, v124, v44
	v_add_f16_e64 v185, v171, v99
	v_add_f16_e64 v152, v87, v90
	v_add_f16_e32 v124, v38, v37
	v_mul_f16_e64 v171, 0x3964, v144
	v_fma_f16 v103, 0x3bb2, v121, v180
	v_add_f16_e64 v186, v42, v105
	v_fma_f16 v42, v120, 0xb461, -v125
	v_sub_f16_e32 v125, v37, v38
	v_mul_f16_e64 v174, 0x39e9, v152
	v_fmac_f16_e64 v180, 0xbbb2, v121
	v_fma_f16 v44, v124, 0x39e9, -v171
	v_mul_f16_e64 v177, 0xba62, v144
	v_add_f16_e64 v188, v42, v108
	v_fma_f16 v99, 0x3964, v125, v174
	v_add_f16_e64 v189, v180, v102
	v_add_f16_e32 v42, v44, v41
	v_fma_f16 v41, v124, 0xb8d2, -v177
	v_mul_f16_e64 v180, 0xb8d2, v152
	v_add_f16_e64 v105, v99, v181
	v_mul_f16_e64 v181, 0x3b29, v144
	v_mul_f16_e64 v99, 0xbbb2, v144
	v_add_f16_e32 v41, v41, v43
	v_fma_f16 v43, 0xba62, v125, v180
	v_add_f16_e64 v187, v103, v106
	v_mul_f16_e64 v182, 0x3722, v152
	v_fma_f16 v44, v124, 0x3722, -v181
	v_mul_f16_e64 v106, 0xb461, v152
	v_add_f16_e32 v103, v43, v45
	v_fmamk_f16 v43, v124, 0xb461, v99
	v_fma_f16 v102, 0x3b29, v125, v182
	v_add_f16_e32 v44, v44, v46
	v_fmamk_f16 v45, v125, 0x3bb2, v106
	v_fma_f16 v46, v124, 0xb461, -v99
	v_add_f16_e32 v99, v43, v107
	v_mul_f16_e64 v107, 0x3bf7, v144
	v_mul_f16_e64 v190, 0x2de8, v152
	v_add_f16_e32 v102, v102, v100
	v_add_f16_e64 v100, v45, v183
	v_add_f16_e64 v43, v46, v184
	v_fmac_f16_e32 v106, 0xbbb2, v125
	v_fmamk_f16 v45, v124, 0x2de8, v107
	v_fma_f16 v46, 0xbbf7, v125, v190
	v_fma_f16 v107, v124, 0x2de8, -v107
	v_fmac_f16_e64 v190, 0x3bf7, v125
	v_add_f16_e64 v106, v106, v185
	v_add_f16_e64 v45, v45, v186
	;; [unrolled: 1-line block ×5, first 2 shown]
	global_wb scope:SCOPE_SE
	s_barrier_signal -1
	s_barrier_wait -1
	global_inv scope:SCOPE_SE
	s_and_saveexec_b32 s1, vcc_lo
	s_cbranch_execz .LBB0_17
; %bb.16:
	v_mul_f16_e64 v188, 0xba62, v96
	v_mul_f16_e64 v194, 0x3bb2, v98
	;; [unrolled: 1-line block ×5, first 2 shown]
	v_sub_f16_e64 v141, v141, v188
	v_sub_f16_e64 v150, v150, v194
	v_mul_f16_e64 v193, 0xb461, v97
	v_mul_f16_e64 v212, 0x3bf7, v113
	v_add_f16_e64 v138, v187, v138
	v_add_f16_e64 v141, v141, v95
	v_mul_f16_e64 v186, 0xbbb2, v96
	v_mul_f16_e64 v199, 0x3b76, v101
	;; [unrolled: 1-line block ×3, first 2 shown]
	v_add_f16_e64 v138, v138, v29
	v_add_f16_e64 v141, v150, v141
	v_sub_f16_e64 v150, v158, v200
	v_add_f16_e64 v147, v193, v147
	v_mul_f16_e64 v192, 0x3836, v98
	v_mul_f16_e64 v205, 0xbacd, v109
	;; [unrolled: 1-line block ×3, first 2 shown]
	v_add_f16_e64 v141, v150, v141
	v_sub_f16_e64 v150, v162, v206
	v_add_f16_e64 v138, v147, v138
	v_add_f16_e64 v147, v199, v155
	v_sub_f16_e64 v134, v134, v186
	v_mul_f16_e64 v198, 0x3964, v104
	v_add_f16_e64 v141, v150, v141
	v_sub_f16_e64 v150, v169, v212
	v_mul_f16_e64 v211, 0x2de8, v112
	v_mul_f16_e64 v155, 0x3b29, v125
	v_add_f16_e64 v138, v147, v138
	v_add_f16_e64 v147, v205, v159
	;; [unrolled: 1-line block ×3, first 2 shown]
	v_sub_f16_e64 v150, v176, v217
	v_add_f16_e64 v134, v134, v95
	v_sub_f16_e64 v143, v143, v192
	v_mul_f16_e64 v185, 0xb461, v94
	v_mul_f16_e64 v204, 0xbb29, v110
	v_add_f16_e64 v141, v150, v141
	v_sub_f16_e64 v150, v179, v200
	v_mul_f16_e64 v216, 0x39e9, v116
	v_add_f16_e64 v138, v147, v138
	v_add_f16_e64 v147, v211, v166
	;; [unrolled: 1-line block ×4, first 2 shown]
	v_sub_f16_e64 v150, v182, v155
	v_sub_f16_e64 v151, v151, v198
	v_mul_f16_e64 v191, 0xbacd, v97
	v_mul_f16_e64 v210, 0xb1e1, v113
	;; [unrolled: 1-line block ×3, first 2 shown]
	v_add_f16_e64 v138, v147, v138
	v_add_f16_e64 v147, v216, v173
	;; [unrolled: 1-line block ×5, first 2 shown]
	v_sub_f16_e64 v143, v157, v204
	v_mul_f16_e64 v183, 0x2de8, v94
	v_mul_f16_e64 v184, 0xbbf7, v96
	;; [unrolled: 1-line block ×5, first 2 shown]
	v_add_f16_e64 v138, v147, v138
	v_add_f16_e64 v147, v158, v178
	;; [unrolled: 1-line block ×5, first 2 shown]
	v_sub_f16_e64 v143, v164, v210
	v_mul_f16_e64 v189, 0xbbdd, v97
	v_mul_f16_e64 v190, 0xb1e1, v98
	;; [unrolled: 1-line block ×4, first 2 shown]
	v_add_f16_e64 v138, v147, v138
	v_add_f16_e64 v147, v193, v181
	;; [unrolled: 1-line block ×5, first 2 shown]
	v_sub_f16_e64 v143, v170, v215
	v_sub_f16_e64 v129, v129, v184
	v_add_f16_e64 v126, v183, v126
	v_mul_f16_e64 v195, 0xb461, v101
	v_mul_f16_e64 v196, 0x3bb2, v104
	;; [unrolled: 1-line block ×4, first 2 shown]
	v_add_f16_e64 v131, v147, v138
	v_add_f16_e64 v138, v148, v139
	;; [unrolled: 1-line block ×4, first 2 shown]
	v_sub_f16_e64 v143, v175, v220
	v_add_f16_e64 v129, v129, v95
	v_sub_f16_e64 v135, v135, v190
	v_add_f16_e32 v126, v126, v29
	v_add_f16_e64 v132, v189, v132
	v_mul_f16_e64 v201, 0x3b76, v109
	v_mul_f16_e64 v202, 0x35c8, v110
	;; [unrolled: 1-line block ×3, first 2 shown]
	v_add_f16_e64 v138, v139, v138
	v_add_f16_e64 v139, v209, v161
	;; [unrolled: 1-line block ×3, first 2 shown]
	v_sub_f16_e64 v143, v180, v169
	v_add_f16_e64 v135, v135, v129
	v_sub_f16_e64 v142, v142, v196
	v_add_f16_e64 v126, v132, v126
	v_add_f16_e64 v132, v195, v140
	v_mul_f16_e64 v207, 0x3722, v112
	v_mul_f16_e64 v208, 0xbb29, v113
	;; [unrolled: 1-line block ×3, first 2 shown]
	v_add_f16_e64 v138, v139, v138
	v_add_f16_e64 v139, v188, v167
	;; [unrolled: 1-line block ×4, first 2 shown]
	v_sub_f16_e64 v141, v149, v202
	v_add_f16_e64 v126, v132, v126
	v_add_f16_e64 v132, v201, v146
	v_mul_f16_e64 v213, 0xbacd, v116
	v_mul_f16_e64 v214, 0xb836, v117
	;; [unrolled: 1-line block ×3, first 2 shown]
	v_add_f16_e64 v138, v139, v138
	v_add_f16_e64 v139, v219, v172
	;; [unrolled: 1-line block ×3, first 2 shown]
	v_sub_f16_e64 v141, v156, v208
	v_add_f16_e64 v126, v132, v126
	v_add_f16_e64 v132, v207, v154
	v_mul_f16_e64 v194, 0xb8d2, v120
	v_add_f16_e64 v138, v139, v138
	v_add_f16_e64 v139, v187, v177
	;; [unrolled: 1-line block ×3, first 2 shown]
	v_sub_f16_e64 v140, v163, v214
	v_mul_f16_e64 v141, 0x3722, v114
	v_add_f16_e64 v126, v132, v126
	v_add_f16_e64 v132, v213, v160
	v_mul_f16_e64 v218, 0x3a62, v121
	v_add_f16_e64 v138, v139, v138
	v_add_f16_e64 v135, v140, v135
	v_fma_f16 v139, 0x3b29, v96, v141
	v_mul_f16_e64 v140, 0xb8d2, v118
	v_add_f16_e64 v126, v132, v126
	v_add_f16_e64 v132, v194, v165
	v_sub_f16_e64 v142, v168, v218
	v_add_f16_e64 v139, v139, v95
	v_fma_f16 v143, 0x3a62, v98, v140
	v_mul_f16_e64 v146, 0xbbdd, v122
	v_add_f16_e64 v126, v132, v126
	v_mul_f16_e64 v132, 0xbb29, v111
	v_mul_f16_e64 v221, 0x39e9, v124
	;; [unrolled: 1-line block ×3, first 2 shown]
	v_add_f16_e64 v135, v142, v135
	v_add_f16_e64 v139, v143, v139
	v_fma_f16 v142, 0xb1e1, v104, v146
	v_mul_f16_e64 v143, 0xb461, v127
	v_fma_f16 v150, 0x3722, v94, v132
	v_mul_f16_e64 v151, 0xba62, v115
	v_sub_f16_e64 v147, v174, v162
	v_add_f16_e64 v139, v142, v139
	v_fma_f16 v142, 0xbbb2, v110, v143
	v_mul_f16_e64 v148, 0x39e9, v133
	v_add_f16_e64 v149, v221, v171
	v_add_f16_e64 v150, v150, v29
	v_fma_f16 v154, 0xb8d2, v97, v151
	v_mul_f16_e64 v155, 0x31e1, v119
	v_add_f16_e64 v135, v147, v135
	;; [unrolled: 4-line block ×4, first 2 shown]
	v_fma_f16 v142, 0x35c8, v117, v147
	v_mul_f16_e64 v153, 0x2de8, v145
	v_mul_f16_e64 v156, 0x39e9, v114
	v_add_f16_e64 v149, v150, v149
	v_fma_f16 v150, 0xb461, v109, v154
	v_mul_f16_e64 v157, 0x3964, v128
	v_add_f16_e64 v139, v142, v139
	v_fma_f16 v142, 0x3bf7, v121, v153
	v_fma_f16 v159, 0x3964, v96, v156
	v_mul_f16_e64 v160, 0x2de8, v118
	v_add_f16_e64 v149, v150, v149
	v_fma_f16 v150, 0x39e9, v112, v157
	v_mul_f16_e64 v161, 0xb5c8, v130
	v_add_f16_e64 v139, v142, v139
	v_mul_f16_e64 v142, 0xbacd, v152
	v_add_f16_e64 v159, v159, v95
	v_fma_f16 v162, 0x3bf7, v98, v160
	v_mul_f16_e64 v163, 0xb8d2, v122
	v_add_f16_e64 v149, v150, v149
	v_fma_f16 v150, 0x3b76, v116, v161
	v_mul_f16_e64 v164, 0xbbf7, v136
	v_fma_f16 v158, 0x3836, v125, v142
	v_add_f16_e64 v159, v162, v159
	v_fma_f16 v162, 0x3a62, v104, v163
	v_mul_f16_e64 v165, 0xbbdd, v127
	v_add_f16_e64 v149, v150, v149
	v_fma_f16 v150, 0x2de8, v120, v164
	v_mul_f16_e64 v166, 0xb964, v111
	v_add_f16_e64 v139, v158, v139
	v_add_f16_e64 v158, v162, v159
	v_fma_f16 v159, 0x31e1, v110, v165
	v_mul_f16_e64 v162, 0xbacd, v133
	v_add_f16_e64 v149, v150, v149
	v_mul_f16_e64 v150, 0xb836, v144
	v_fma_f16 v169, 0x39e9, v94, v166
	v_mul_f16_e64 v170, 0xbbf7, v115
	v_add_f16_e64 v158, v159, v158
	v_fma_f16 v159, 0xb836, v113, v162
	v_mul_f16_e64 v167, 0xb461, v137
	v_fma_f16 v168, 0xbacd, v124, v150
	v_add_f16_e64 v169, v169, v29
	v_fma_f16 v172, 0x2de8, v97, v170
	v_mul_f16_e64 v173, 0xba62, v119
	v_add_f16_e64 v158, v159, v158
	v_fma_f16 v159, 0xbbb2, v117, v167
	v_mul_f16_e64 v171, 0x3722, v145
	v_add_f16_e64 v149, v168, v149
	v_add_f16_e64 v168, v172, v169
	v_fma_f16 v169, 0xb8d2, v101, v173
	v_mul_f16_e64 v172, 0xb1e1, v123
	v_mul_f16_e32 v114, 0x3b76, v114
	v_add_f16_e64 v158, v159, v158
	v_fma_f16 v159, 0xbb29, v121, v171
	v_add_f16_e64 v168, v169, v168
	v_fma_f16 v169, 0xbbdd, v109, v172
	v_mul_f16_e64 v174, 0x3836, v128
	v_fma_f16 v176, 0x35c8, v96, v114
	v_mul_f16_e32 v118, 0x39e9, v118
	v_add_f16_e64 v158, v159, v158
	v_mul_f16_e64 v159, 0x3b76, v152
	v_add_f16_e64 v168, v169, v168
	v_fma_f16 v169, 0xbacd, v112, v174
	v_mul_f16_e64 v177, 0x3bb2, v130
	v_add_f16_e64 v176, v176, v95
	v_fma_f16 v178, 0x3964, v98, v118
	v_mul_f16_e32 v122, 0x3722, v122
	v_fma_f16 v175, 0xb5c8, v125, v159
	v_add_f16_e64 v168, v169, v168
	v_fma_f16 v169, 0xb461, v116, v177
	v_mul_f16_e64 v179, 0x3b29, v136
	v_add_f16_e64 v176, v178, v176
	v_fma_f16 v178, 0x3b29, v104, v122
	v_mul_f16_e32 v127, 0x2de8, v127
	v_add_f16_e64 v168, v169, v168
	v_fma_f16 v169, 0x3722, v120, v179
	v_add_f16_e64 v158, v175, v158
	v_add_f16_e64 v175, v178, v176
	v_fma_f16 v176, 0x3bf7, v110, v127
	v_mul_f16_e64 v133, 0xb461, v133
	v_mul_f16_e32 v111, 0xb5c8, v111
	v_add_f16_e64 v168, v169, v168
	v_mul_f16_e64 v169, 0x35c8, v144
	v_add_f16_e64 v175, v176, v175
	v_fma_f16 v176, 0x3bb2, v113, v133
	v_mul_f16_e64 v137, 0xb8d2, v137
	v_fma_f16 v180, 0x3b76, v94, v111
	v_mul_f16_e32 v115, 0xb964, v115
	v_fma_f16 v178, 0x3b76, v124, v169
	v_add_f16_e64 v175, v176, v175
	v_fma_f16 v176, 0x3a62, v117, v137
	v_mul_f16_e64 v145, 0xbacd, v145
	v_add_f16_e64 v180, v180, v29
	v_fma_f16 v181, 0x39e9, v97, v115
	v_mul_f16_e32 v119, 0xbb29, v119
	v_fmac_f16_e64 v141, 0xbb29, v96
	v_add_f16_e64 v168, v178, v168
	v_add_f16_e64 v175, v176, v175
	v_fma_f16 v176, 0x3836, v121, v145
	v_add_f16_e64 v178, v181, v180
	v_fma_f16 v180, 0x3722, v101, v119
	v_mul_f16_e32 v123, 0xbbf7, v123
	v_add_f16_e64 v141, v141, v95
	v_fmac_f16_e64 v140, 0xba62, v98
	v_fma_f16 v132, v94, 0x3722, -v132
	v_add_f16_e64 v175, v176, v175
	v_add_f16_e64 v176, v180, v178
	v_fma_f16 v178, 0x2de8, v109, v123
	v_mul_f16_e64 v128, 0xbbb2, v128
	v_add_f16_e64 v140, v140, v141
	v_add_f16_e64 v132, v132, v29
	v_fma_f16 v141, v97, 0xb8d2, -v151
	v_add_f16_e64 v176, v178, v176
	v_fma_f16 v178, 0xb461, v112, v128
	v_mul_f16_e64 v130, 0xba62, v130
	v_fmac_f16_e64 v146, 0x31e1, v104
	v_add_f16_e64 v132, v141, v132
	v_fma_f16 v141, v101, 0xbbdd, -v155
	v_add_f16_e64 v151, v178, v176
	v_fma_f16 v176, 0xb8d2, v116, v130
	v_add_f16_e64 v140, v146, v140
	v_fmac_f16_e64 v143, 0x3bb2, v110
	v_mul_f16_e64 v136, 0xb836, v136
	v_add_f16_e64 v132, v141, v132
	v_fma_f16 v141, v109, 0xb461, -v154
	v_add_f16_e64 v146, v176, v151
	v_add_f16_e64 v140, v143, v140
	v_fmac_f16_e64 v148, 0x3964, v113
	v_fma_f16 v143, 0xbacd, v120, v136
	v_mul_f16_e64 v144, 0xb1e1, v144
	v_add_f16_e64 v132, v141, v132
	v_fma_f16 v141, v112, 0x39e9, -v157
	v_add_f16_e64 v140, v148, v140
	v_fmac_f16_e64 v147, 0xb5c8, v117
	v_add_f16_e64 v143, v143, v146
	v_fma_f16 v146, 0xbbdd, v124, v144
	v_add_f16_e64 v132, v141, v132
	v_fma_f16 v141, v116, 0x3b76, -v161
	v_fmac_f16_e64 v156, 0xb964, v96
	v_add_f16_e64 v140, v147, v140
	v_fmac_f16_e64 v153, 0xbbf7, v121
	v_add_f16_e64 v143, v146, v143
	v_add_f16_e64 v132, v141, v132
	v_fma_f16 v141, v120, 0x2de8, -v164
	v_add_f16_e64 v146, v156, v95
	v_fmac_f16_e64 v160, 0xbbf7, v98
	v_fma_f16 v148, v94, 0x39e9, -v166
	v_add_f16_e64 v140, v153, v140
	v_fmac_f16_e64 v142, 0xb836, v125
	v_add_f16_e64 v132, v141, v132
	v_fma_f16 v141, v124, 0xbacd, -v150
	v_add_f16_e64 v146, v160, v146
	v_fmac_f16_e64 v163, 0xba62, v104
	v_add_f16_e64 v148, v148, v29
	v_fma_f16 v150, v97, 0x2de8, -v170
	v_add_f16_e32 v86, v86, v95
	v_add_f16_e32 v30, v30, v29
	v_add_f16_e64 v140, v142, v140
	v_add_f16_e64 v132, v141, v132
	;; [unrolled: 1-line block ×4, first 2 shown]
	v_fma_f16 v146, v101, 0xb8d2, -v173
	v_add_f16_e32 v85, v85, v86
	v_add_f16_e32 v30, v31, v30
	v_fma_f16 v31, v109, 0xbbdd, -v172
	v_fmac_f16_e32 v114, 0xb5c8, v96
	v_add_f16_e64 v142, v146, v142
	v_add_f16_e32 v85, v88, v85
	v_add_f16_e32 v30, v32, v30
	v_fma_f16 v32, v112, 0xbacd, -v174
	v_fmac_f16_e32 v118, 0xb964, v98
	v_add_f16_e64 v31, v31, v142
	v_add_f16_e32 v85, v89, v85
	v_add_f16_e32 v30, v35, v30
	v_fmac_f16_e32 v122, 0xbb29, v104
	v_fmac_f16_e64 v165, 0xb1e1, v110
	v_add_f16_e32 v31, v32, v31
	v_fma_f16 v32, v116, 0xb461, -v177
	v_add_f16_e32 v35, v91, v85
	v_add_f16_e32 v30, v36, v30
	v_fmac_f16_e32 v127, 0xbbf7, v110
	v_add_f16_e64 v141, v165, v141
	v_add_f16_e32 v31, v32, v31
	v_add_f16_e32 v32, v93, v35
	;; [unrolled: 1-line block ×3, first 2 shown]
	v_fma_f16 v35, v120, 0x3722, -v179
	v_add_f16_e32 v39, v114, v95
	v_fmac_f16_e64 v162, 0x3836, v113
	v_add_f16_e32 v32, v92, v32
	v_add_f16_e32 v30, v40, v30
	;; [unrolled: 1-line block ×3, first 2 shown]
	v_fma_f16 v35, v124, 0x3b76, -v169
	v_fmac_f16_e64 v133, 0xbbb2, v113
	v_add_f16_e32 v32, v90, v32
	v_add_f16_e32 v30, v37, v30
	;; [unrolled: 1-line block ×4, first 2 shown]
	v_fma_f16 v35, v94, 0x3b76, -v111
	v_add_f16_e32 v32, v87, v32
	v_add_f16_e32 v30, v38, v30
	v_mul_f16_e64 v152, 0xbbdd, v152
	v_add_f16_e64 v86, v162, v141
	v_add_f16_e32 v29, v35, v29
	v_add_f16_e32 v32, v84, v32
	;; [unrolled: 1-line block ×3, first 2 shown]
	v_fma_f16 v33, v97, 0x39e9, -v115
	v_add_f16_e32 v35, v122, v37
	v_fmac_f16_e64 v167, 0x3bb2, v117
	v_add_f16_e32 v32, v83, v32
	v_add_f16_e32 v30, v34, v30
	;; [unrolled: 1-line block ×3, first 2 shown]
	v_fma_f16 v33, v101, 0x3722, -v119
	v_add_f16_e32 v34, v127, v35
	v_add_f16_e32 v32, v82, v32
	;; [unrolled: 1-line block ×3, first 2 shown]
	v_fma_f16 v30, v109, 0x2de8, -v123
	v_add_f16_e32 v29, v33, v29
	v_fmac_f16_e64 v137, 0xba62, v117
	v_add_f16_e32 v32, v81, v32
	v_add_f16_e32 v27, v28, v27
	v_add_f16_e64 v28, v133, v34
	v_add_f16_e32 v29, v30, v29
	v_fma_f16 v180, 0x31e1, v125, v152
	v_add_f16_e32 v30, v53, v32
	v_add_f16_e32 v21, v21, v27
	v_fma_f16 v27, v112, 0xb461, -v128
	v_add_f16_e64 v86, v167, v86
	v_fmac_f16_e64 v171, 0x3b29, v121
	v_add_f16_e32 v30, v52, v30
	v_add_f16_e32 v21, v22, v21
	;; [unrolled: 1-line block ×3, first 2 shown]
	v_fma_f16 v27, v116, 0xb8d2, -v130
	v_add_f16_e64 v28, v137, v28
	v_add_f16_e32 v29, v51, v30
	v_add_f16_e32 v21, v50, v21
	v_fmac_f16_e64 v145, 0xb836, v121
	v_add_f16_e32 v22, v27, v22
	v_fma_f16 v27, v120, 0xbacd, -v136
	v_lshlrev_b32_e32 v29, 16, v29
	v_and_b32_e32 v21, 0xffff, v21
	v_and_b32_e32 v30, 0xffff, v49
	v_add_f16_e64 v147, v180, v175
	v_add_f16_e64 v36, v171, v86
	v_fmac_f16_e64 v159, 0x35c8, v125
	v_add_f16_e64 v28, v145, v28
	v_fmac_f16_e64 v152, 0xb1e1, v125
	v_add_f16_e32 v22, v27, v22
	v_fma_f16 v27, v124, 0xbbdd, -v144
	v_or_b32_e32 v21, v29, v21
	v_lshlrev_b32_e32 v29, 2, v30
	v_pack_b32_f16 v30, v168, v158
	v_pack_b32_f16 v32, v143, v147
	;; [unrolled: 1-line block ×6, first 2 shown]
	v_add_f16_e64 v36, v159, v36
	v_add_f16_e64 v28, v152, v28
	v_add_f16_e32 v22, v27, v22
	ds_store_b32 v29, v21
	ds_store_2addr_b32 v29, v32, v30 offset0:1 offset1:2
	ds_store_2addr_b32 v29, v34, v33 offset0:3 offset1:4
	;; [unrolled: 1-line block ×3, first 2 shown]
	v_perm_b32 v21, v108, v45, 0x5040100
	v_perm_b32 v27, v100, v99, 0x5040100
	;; [unrolled: 1-line block ×6, first 2 shown]
	v_pack_b32_f16 v35, v132, v140
	v_perm_b32 v37, v105, v42, 0x5040100
	v_pack_b32_f16 v22, v22, v28
	v_pack_b32_f16 v28, v31, v36
	ds_store_2addr_b32 v29, v27, v21 offset0:7 offset1:8
	ds_store_2addr_b32 v29, v32, v30 offset0:9 offset1:10
	;; [unrolled: 1-line block ×5, first 2 shown]
.LBB0_17:
	s_wait_alu 0xfffe
	s_or_b32 exec_lo, exec_lo, s1
	v_add_nc_u32_e32 v27, 0x680, v47
	v_add_nc_u32_e32 v28, 0xd80, v47
	global_wb scope:SCOPE_SE
	s_wait_dscnt 0x0
	s_barrier_signal -1
	s_barrier_wait -1
	global_inv scope:SCOPE_SE
	ds_load_2addr_b32 v[21:22], v47 offset1:221
	ds_load_2addr_b32 v[29:30], v27 offset0:26 offset1:247
	ds_load_2addr_b32 v[27:28], v28 offset0:20 offset1:241
	ds_load_b32 v31, v47 offset:5304
	s_and_saveexec_b32 s1, s0
	s_cbranch_execz .LBB0_19
; %bb.18:
	v_add_nc_u32_e32 v32, 0x500, v47
	v_add_nc_u32_e32 v33, 0xc00, v47
	;; [unrolled: 1-line block ×3, first 2 shown]
	ds_load_b32 v99, v47 offset:476
	ds_load_2addr_b32 v[45:46], v32 offset0:20 offset1:241
	ds_load_2addr_b32 v[43:44], v33 offset0:14 offset1:235
	;; [unrolled: 1-line block ×3, first 2 shown]
	s_wait_dscnt 0x3
	v_lshrrev_b32_e32 v100, 16, v99
	s_wait_dscnt 0x2
	v_lshrrev_b32_e32 v108, 16, v45
	v_lshrrev_b32_e32 v107, 16, v46
	s_wait_dscnt 0x1
	v_lshrrev_b32_e32 v106, 16, v43
	;; [unrolled: 3-line block ×3, first 2 shown]
	v_lshrrev_b32_e32 v105, 16, v42
.LBB0_19:
	s_wait_alu 0xfffe
	s_or_b32 exec_lo, exec_lo, s1
	s_wait_dscnt 0x3
	v_lshrrev_b32_e32 v32, 16, v22
	s_wait_dscnt 0x2
	v_lshrrev_b32_e32 v33, 16, v29
	v_lshrrev_b32_e32 v34, 16, v30
	v_mul_f16_e32 v35, v80, v22
	s_wait_dscnt 0x1
	v_lshrrev_b32_e32 v36, 16, v27
	v_mul_f16_e32 v37, v80, v32
	v_lshrrev_b32_e32 v38, 16, v28
	s_wait_dscnt 0x0
	v_lshrrev_b32_e32 v39, 16, v31
	v_fma_f16 v32, v4, v32, -v35
	v_mul_f16_e32 v35, v78, v33
	v_fmac_f16_e32 v37, v4, v22
	v_mul_f16_e32 v4, v78, v29
	v_mul_f16_e32 v22, v77, v34
	;; [unrolled: 1-line block ×4, first 2 shown]
	v_fmac_f16_e32 v35, v5, v29
	v_fma_f16 v4, v5, v33, -v4
	v_fmac_f16_e32 v22, v6, v30
	v_fma_f16 v5, v6, v34, -v40
	v_mul_f16_e32 v6, v74, v39
	v_mul_f16_e32 v29, v74, v31
	v_mul_f16_e32 v30, v71, v38
	v_mul_f16_e32 v33, v71, v28
	v_fmac_f16_e32 v49, v7, v27
	v_mul_f16_e32 v27, v72, v27
	v_fmac_f16_e32 v6, v26, v31
	v_fma_f16 v26, v26, v39, -v29
	v_fmac_f16_e32 v30, v25, v28
	v_fma_f16 v25, v25, v38, -v33
	v_fma_f16 v7, v7, v36, -v27
	v_add_f16_e32 v27, v37, v6
	v_add_f16_e32 v28, v32, v26
	;; [unrolled: 1-line block ×4, first 2 shown]
	v_sub_f16_e32 v26, v32, v26
	v_sub_f16_e32 v4, v4, v25
	v_add_f16_e32 v25, v22, v49
	v_add_f16_e32 v32, v5, v7
	v_sub_f16_e32 v5, v7, v5
	v_add_f16_e32 v7, v29, v27
	v_add_f16_e32 v33, v31, v28
	v_sub_f16_e32 v30, v35, v30
	v_sub_f16_e32 v35, v31, v28
	;; [unrolled: 1-line block ×4, first 2 shown]
	v_add_f16_e32 v32, v32, v33
	v_lshrrev_b32_e32 v33, 16, v21
	v_add_f16_e32 v7, v25, v7
	v_sub_f16_e32 v22, v49, v22
	v_sub_f16_e32 v6, v37, v6
	;; [unrolled: 1-line block ×3, first 2 shown]
	v_add_f16_e32 v33, v32, v33
	v_add_f16_e32 v21, v7, v21
	v_sub_f16_e32 v27, v27, v25
	v_sub_f16_e32 v29, v25, v29
	v_add_f16_e32 v25, v22, v30
	v_add_f16_e32 v36, v5, v4
	v_sub_f16_e32 v37, v22, v30
	v_sub_f16_e32 v38, v5, v4
	v_lshlrev_b32_e32 v39, 16, v33
	v_and_b32_e32 v40, 0xffff, v21
	v_sub_f16_e32 v30, v30, v6
	v_sub_f16_e32 v4, v4, v26
	;; [unrolled: 1-line block ×4, first 2 shown]
	v_add_f16_e32 v6, v25, v6
	v_add_f16_e32 v25, v36, v26
	v_or_b32_e32 v26, v39, v40
	v_mul_f16_e32 v27, 0x3a52, v27
	v_mul_f16_e32 v28, 0x3a52, v28
	;; [unrolled: 1-line block ×8, first 2 shown]
	v_fmac_f16_e32 v21, 0xbcab, v7
	v_fmac_f16_e32 v33, 0xbcab, v32
	v_fmamk_f16 v7, v29, 0x2b26, v27
	v_fmamk_f16 v29, v31, 0x2b26, v28
	v_fma_f16 v31, v34, 0x39e0, -v36
	v_fma_f16 v32, v35, 0x39e0, -v39
	;; [unrolled: 1-line block ×4, first 2 shown]
	v_fmamk_f16 v34, v22, 0xb574, v37
	v_fmamk_f16 v35, v5, 0xb574, v38
	v_fma_f16 v30, v30, 0xbb00, -v37
	v_fma_f16 v4, v4, 0xbb00, -v38
	;; [unrolled: 1-line block ×4, first 2 shown]
	v_add_f16_e32 v7, v7, v21
	v_add_f16_e32 v29, v29, v33
	v_fmac_f16_e32 v34, 0xb70e, v6
	v_fmac_f16_e32 v35, 0xb70e, v25
	v_add_f16_e32 v31, v31, v21
	v_add_f16_e32 v32, v32, v33
	;; [unrolled: 1-line block ×4, first 2 shown]
	v_fmac_f16_e32 v30, 0xb70e, v6
	v_fmac_f16_e32 v5, 0xb70e, v25
	;; [unrolled: 1-line block ×4, first 2 shown]
	v_add_f16_e32 v6, v35, v7
	v_sub_f16_e32 v25, v29, v34
	v_add_f16_e32 v28, v5, v21
	v_sub_f16_e32 v33, v27, v22
	v_sub_f16_e32 v36, v31, v4
	v_add_f16_e32 v37, v30, v32
	v_add_f16_e32 v4, v4, v31
	v_sub_f16_e32 v30, v32, v30
	v_sub_f16_e32 v5, v21, v5
	v_add_f16_e32 v21, v22, v27
	v_sub_f16_e32 v7, v7, v35
	v_add_f16_e32 v22, v34, v29
	v_pack_b32_f16 v6, v6, v25
	v_pack_b32_f16 v25, v28, v33
	;; [unrolled: 1-line block ×6, first 2 shown]
	global_wb scope:SCOPE_SE
	s_barrier_signal -1
	s_barrier_wait -1
	global_inv scope:SCOPE_SE
	ds_store_2addr_b32 v62, v26, v6 offset1:17
	ds_store_2addr_b32 v62, v25, v27 offset0:34 offset1:51
	ds_store_2addr_b32 v62, v4, v5 offset0:68 offset1:85
	ds_store_b32 v62, v7 offset:408
	s_and_saveexec_b32 s1, s0
	s_cbranch_execz .LBB0_21
; %bb.20:
	v_mul_f16_e32 v4, v60, v108
	v_mul_f16_e32 v7, v58, v107
	;; [unrolled: 1-line block ×10, first 2 shown]
	v_fmac_f16_e32 v7, v1, v46
	v_fmac_f16_e32 v21, v23, v41
	v_fmac_f16_e32 v4, v0, v45
	v_fmac_f16_e32 v22, v24, v42
	v_fma_f16 v24, v24, v105, -v27
	v_fma_f16 v0, v0, v108, -v30
	v_mul_f16_e32 v30, v56, v43
	v_mul_f16_e32 v33, v57, v44
	v_fma_f16 v23, v23, v103, -v31
	v_fma_f16 v1, v1, v107, -v32
	v_fmac_f16_e32 v5, v3, v44
	v_fmac_f16_e32 v6, v2, v43
	v_add_f16_e32 v31, v24, v0
	v_fma_f16 v2, v2, v106, -v30
	v_fma_f16 v3, v3, v102, -v33
	v_add_f16_e32 v30, v23, v1
	v_sub_f16_e32 v26, v7, v21
	v_sub_f16_e32 v28, v4, v22
	v_add_f16_e32 v4, v22, v4
	v_add_f16_e32 v33, v2, v3
	;; [unrolled: 1-line block ×4, first 2 shown]
	v_sub_f16_e32 v25, v5, v6
	v_add_f16_e32 v5, v6, v5
	v_sub_f16_e32 v35, v31, v33
	v_add_f16_e32 v34, v33, v34
	;; [unrolled: 2-line block ×3, first 2 shown]
	v_sub_f16_e32 v36, v4, v5
	v_sub_f16_e32 v2, v3, v2
	;; [unrolled: 1-line block ×4, first 2 shown]
	v_add_f16_e32 v33, v5, v33
	v_sub_f16_e32 v29, v25, v26
	v_sub_f16_e32 v27, v28, v25
	v_add_f16_e32 v25, v25, v26
	v_mul_f16_e32 v3, 0x3a52, v36
	v_sub_f16_e32 v5, v5, v7
	v_add_f16_e32 v23, v99, v33
	v_sub_f16_e32 v24, v2, v1
	v_sub_f16_e32 v26, v26, v28
	v_mul_f16_e32 v22, 0x3a52, v35
	v_sub_f16_e32 v37, v0, v2
	v_add_f16_e32 v2, v2, v1
	v_sub_f16_e32 v30, v30, v31
	v_sub_f16_e32 v1, v1, v0
	v_mul_f16_e32 v29, 0x3846, v29
	v_add_f16_e32 v6, v100, v34
	v_mul_f16_e32 v35, 0x2b26, v21
	v_fmamk_f16 v36, v5, 0x2b26, v3
	v_fmamk_f16 v33, v33, 0xbcab, v23
	v_mul_f16_e32 v24, 0x3846, v24
	v_mul_f16_e32 v39, 0xbb00, v26
	v_fmamk_f16 v21, v21, 0x2b26, v22
	v_mul_f16_e32 v5, 0x2b26, v5
	v_sub_f16_e32 v4, v7, v4
	v_fma_f16 v7, v30, 0xb9e0, -v22
	v_mul_f16_e32 v22, 0xbb00, v1
	v_fmamk_f16 v32, v27, 0xb574, v29
	v_add_f16_e32 v25, v25, v28
	v_fmamk_f16 v34, v34, 0xbcab, v6
	v_add_f16_e32 v28, v36, v33
	v_fmamk_f16 v36, v37, 0xb574, v24
	v_add_f16_e32 v0, v2, v0
	v_fma_f16 v2, v27, 0x3574, -v39
	v_fma_f16 v27, v30, 0x39e0, -v35
	;; [unrolled: 1-line block ×7, first 2 shown]
	v_fmac_f16_e32 v32, 0xb70e, v25
	v_add_f16_e32 v21, v21, v34
	v_fmac_f16_e32 v36, 0xb70e, v0
	v_fmac_f16_e32 v2, 0xb70e, v25
	v_add_f16_e32 v7, v7, v34
	v_add_f16_e32 v5, v27, v34
	v_fmac_f16_e32 v26, 0xb70e, v25
	v_add_f16_e32 v3, v3, v33
	v_fmac_f16_e32 v22, 0xb70e, v0
	v_fmac_f16_e32 v1, 0xb70e, v0
	v_add_f16_e32 v0, v4, v33
	v_add_f16_e32 v38, v32, v21
	v_add_f16_e32 v24, v2, v7
	v_sub_f16_e32 v27, v5, v26
	v_add_f16_e32 v5, v26, v5
	v_sub_f16_e32 v2, v7, v2
	v_mul_u32_u24_e32 v7, 0x77, v55
	v_sub_f16_e32 v21, v21, v32
	v_add_f16_e32 v26, v36, v28
	v_sub_f16_e32 v25, v3, v22
	v_add_f16_e32 v29, v1, v0
	v_add_f16_e32 v3, v22, v3
	v_sub_f16_e32 v0, v0, v1
	v_sub_f16_e32 v4, v28, v36
	v_add_lshl_u32 v1, v7, v54, 2
	v_pack_b32_f16 v6, v23, v6
	v_pack_b32_f16 v7, v26, v21
	;; [unrolled: 1-line block ×7, first 2 shown]
	ds_store_2addr_b32 v1, v6, v7 offset1:17
	ds_store_2addr_b32 v1, v2, v0 offset0:34 offset1:51
	ds_store_2addr_b32 v1, v3, v5 offset0:68 offset1:85
	ds_store_b32 v1, v4 offset:408
.LBB0_21:
	s_wait_alu 0xfffe
	s_or_b32 exec_lo, exec_lo, s1
	v_add_nc_u32_e32 v5, 0x400, v47
	v_add_nc_u32_e32 v3, 0x800, v47
	global_wb scope:SCOPE_SE
	s_wait_dscnt 0x0
	s_barrier_signal -1
	s_barrier_wait -1
	global_inv scope:SCOPE_SE
	ds_load_2addr_b32 v[6:7], v47 offset0:119 offset1:238
	ds_load_2addr_b32 v[21:22], v5 offset0:101 offset1:220
	;; [unrolled: 1-line block ×3, first 2 shown]
	v_add_nc_u32_e32 v2, 0xc00, v47
	v_add_nc_u32_e32 v1, 0x1000, v47
	;; [unrolled: 1-line block ×3, first 2 shown]
	ds_load_2addr_b32 v[25:26], v2 offset0:65 offset1:184
	ds_load_2addr_b32 v[27:28], v1 offset0:47 offset1:166
	;; [unrolled: 1-line block ×3, first 2 shown]
	ds_load_b32 v31, v47
	s_wait_dscnt 0x6
	v_lshrrev_b32_e32 v4, 16, v6
	v_mul_f16_e32 v33, v79, v6
	s_wait_dscnt 0x5
	v_lshrrev_b32_e32 v34, 16, v21
	v_lshrrev_b32_e32 v32, 16, v7
	;; [unrolled: 1-line block ×3, first 2 shown]
	v_mul_f16_e32 v40, v79, v4
	v_fma_f16 v33, v16, v4, -v33
	v_mul_f16_e32 v46, v75, v34
	v_mul_f16_e32 v4, v75, v21
	s_wait_dscnt 0x4
	v_lshrrev_b32_e32 v36, 16, v23
	v_fmac_f16_e32 v40, v16, v6
	v_mul_f16_e32 v45, v76, v32
	v_mul_f16_e32 v6, v76, v7
	v_fmac_f16_e32 v46, v18, v21
	v_mul_f16_e32 v21, v73, v35
	v_fma_f16 v18, v18, v34, -v4
	s_wait_dscnt 0x0
	v_lshrrev_b32_e32 v34, 16, v31
	v_lshrrev_b32_e32 v37, 16, v24
	v_fmac_f16_e32 v45, v17, v7
	v_fma_f16 v32, v17, v32, -v6
	v_mul_f16_e32 v4, v73, v22
	v_mul_f16_e32 v16, v70, v36
	v_fmac_f16_e32 v21, v19, v22
	v_mul_f16_e32 v6, v70, v23
	v_add_f16_e32 v7, v33, v34
	v_add_f16_e32 v22, v40, v31
	v_fma_f16 v19, v19, v35, -v4
	v_fmac_f16_e32 v16, v12, v23
	v_fma_f16 v17, v12, v36, -v6
	v_mul_f16_e32 v4, v69, v37
	v_mul_f16_e32 v12, v69, v24
	v_add_f16_e32 v7, v7, v32
	v_add_f16_e32 v22, v22, v45
	v_lshrrev_b32_e32 v38, 16, v25
	v_fmac_f16_e32 v4, v13, v24
	v_fma_f16 v12, v13, v37, -v12
	v_add_f16_e32 v7, v7, v18
	v_add_f16_e32 v13, v22, v46
	v_mul_f16_e32 v6, v68, v38
	v_mul_f16_e32 v22, v68, v25
	v_lshrrev_b32_e32 v39, 16, v26
	v_add_f16_e32 v7, v7, v19
	v_add_f16_e32 v24, v13, v21
	v_fmac_f16_e32 v6, v14, v25
	v_fma_f16 v13, v14, v38, -v22
	v_lshrrev_b32_e32 v41, 16, v27
	v_add_f16_e32 v7, v7, v17
	v_add_f16_e32 v14, v24, v16
	v_mul_f16_e32 v23, v67, v39
	v_mul_f16_e32 v25, v67, v26
	v_lshrrev_b32_e32 v42, 16, v28
	v_add_f16_e32 v7, v7, v12
	v_add_f16_e32 v14, v14, v4
	v_fmac_f16_e32 v23, v15, v26
	v_fma_f16 v15, v15, v39, -v25
	v_mul_f16_e32 v22, v66, v41
	v_mul_f16_e32 v24, v66, v27
	v_add_f16_e32 v7, v7, v13
	v_add_f16_e32 v14, v14, v6
	v_lshrrev_b32_e32 v43, 16, v29
	v_mul_f16_e32 v25, v65, v42
	v_fmac_f16_e32 v22, v8, v27
	v_fma_f16 v8, v8, v41, -v24
	v_mul_f16_e32 v24, v65, v28
	v_add_f16_e32 v7, v7, v15
	v_add_f16_e32 v14, v14, v23
	v_lshrrev_b32_e32 v44, 16, v30
	v_fmac_f16_e32 v25, v9, v28
	v_mul_f16_e32 v26, v64, v43
	v_mul_f16_e32 v27, v64, v29
	v_fma_f16 v9, v9, v42, -v24
	v_add_f16_e32 v7, v7, v8
	v_add_f16_e32 v14, v14, v22
	v_mul_f16_e32 v24, v63, v30
	v_fmac_f16_e32 v26, v10, v29
	v_fma_f16 v10, v10, v43, -v27
	v_mul_f16_e32 v27, v63, v44
	v_add_f16_e32 v7, v7, v9
	v_add_f16_e32 v14, v14, v25
	v_fma_f16 v24, v11, v44, -v24
	v_sub_f16_e32 v56, v32, v10
	v_fmac_f16_e32 v27, v11, v30
	v_add_f16_e32 v7, v7, v10
	v_add_f16_e32 v11, v14, v26
	v_sub_f16_e32 v14, v33, v24
	v_add_f16_e32 v58, v45, v26
	v_add_f16_e32 v28, v40, v27
	v_add_f16_e32 v7, v7, v24
	v_add_f16_e32 v11, v11, v27
	v_mul_f16_e32 v29, 0xb770, v14
	v_add_f16_e32 v24, v33, v24
	v_sub_f16_e32 v27, v40, v27
	v_lshlrev_b32_e32 v7, 16, v7
	v_and_b32_e32 v11, 0xffff, v11
	v_fmamk_f16 v30, v28, 0x3b15, v29
	v_mul_f16_e32 v33, 0x3b15, v24
	v_mul_f16_e32 v35, 0xba95, v14
	;; [unrolled: 1-line block ×12, first 2 shown]
	v_add_f16_e32 v10, v32, v10
	v_or_b32_e32 v7, v7, v11
	v_add_f16_e32 v11, v30, v31
	v_fmamk_f16 v30, v27, 0x3770, v33
	v_fma_f16 v29, v28, 0x3b15, -v29
	v_fmac_f16_e32 v33, 0xb770, v27
	v_fmamk_f16 v37, v28, 0x388b, v35
	v_fmamk_f16 v38, v27, 0x3a95, v36
	v_fma_f16 v35, v28, 0x388b, -v35
	v_fmac_f16_e32 v36, 0xba95, v27
	v_fmamk_f16 v40, v28, 0x2fb7, v39
	;; [unrolled: 4-line block ×5, first 2 shown]
	v_fmamk_f16 v57, v27, 0x33a8, v24
	v_fma_f16 v14, v28, 0xbbc4, -v14
	v_fmac_f16_e32 v24, 0xb3a8, v27
	v_sub_f16_e32 v26, v45, v26
	v_fmamk_f16 v27, v58, 0x388b, v59
	v_mul_f16_e32 v28, 0x388b, v10
	v_add_f16_e32 v30, v30, v34
	v_add_f16_e32 v29, v29, v31
	;; [unrolled: 1-line block ×24, first 2 shown]
	v_fmamk_f16 v27, v26, 0x3a95, v28
	v_mul_f16_e32 v31, 0xbb7b, v56
	v_fma_f16 v34, v58, 0x388b, -v59
	v_fmac_f16_e32 v28, 0xba95, v26
	v_mul_f16_e32 v45, 0xb5ac, v10
	v_add_f16_e32 v27, v27, v30
	v_fmamk_f16 v30, v58, 0xb5ac, v31
	v_add_f16_e32 v29, v34, v29
	v_add_f16_e32 v28, v28, v33
	v_fmamk_f16 v33, v26, 0x3b7b, v45
	v_mul_f16_e32 v34, 0xb3a8, v56
	v_add_f16_e32 v30, v30, v37
	v_fma_f16 v31, v58, 0xb5ac, -v31
	v_fmac_f16_e32 v45, 0xbb7b, v26
	v_add_f16_e32 v33, v33, v38
	v_fmamk_f16 v37, v58, 0xbbc4, v34
	v_mul_f16_e32 v38, 0xbbc4, v10
	v_add_f16_e32 v31, v31, v35
	v_add_f16_e32 v35, v45, v36
	v_mul_f16_e32 v36, 0x394e, v56
	v_add_f16_e32 v37, v37, v40
	v_fmamk_f16 v40, v26, 0x33a8, v38
	v_fmac_f16_e32 v38, 0xb3a8, v26
	v_mul_f16_e32 v57, 0xb9fd, v10
	v_fma_f16 v34, v58, 0xbbc4, -v34
	v_fmamk_f16 v45, v58, 0xb9fd, v36
	v_add_f16_e32 v40, v40, v43
	v_add_f16_e32 v38, v38, v41
	v_fmamk_f16 v41, v26, 0xb94e, v57
	v_mul_f16_e32 v43, 0x3bf1, v56
	v_add_f16_e32 v34, v34, v39
	v_add_f16_e32 v39, v45, v44
	v_fma_f16 v36, v58, 0xb9fd, -v36
	v_mul_f16_e32 v44, 0x2fb7, v10
	v_add_f16_e32 v41, v41, v50
	v_fmamk_f16 v45, v58, 0x2fb7, v43
	v_mul_f16_e32 v50, 0x3770, v56
	v_fma_f16 v43, v58, 0x2fb7, -v43
	v_add_f16_e32 v36, v36, v42
	v_fmamk_f16 v42, v26, 0xbbf1, v44
	v_add_f16_e32 v45, v45, v53
	v_fmac_f16_e32 v44, 0x3bf1, v26
	v_fmamk_f16 v53, v58, 0x3b15, v50
	v_add_f16_e32 v43, v43, v51
	v_sub_f16_e32 v51, v18, v9
	v_add_f16_e32 v42, v42, v54
	v_mul_f16_e32 v10, 0x3b15, v10
	v_add_f16_e32 v44, v44, v52
	v_add_f16_e32 v52, v53, v55
	;; [unrolled: 1-line block ×3, first 2 shown]
	v_mul_f16_e32 v55, 0xbbf1, v51
	v_add_f16_e32 v9, v18, v9
	v_fmac_f16_e32 v57, 0x394e, v26
	v_fmamk_f16 v53, v26, 0xb770, v10
	v_fma_f16 v18, v58, 0x3b15, -v50
	v_fmac_f16_e32 v10, 0x3770, v26
	v_sub_f16_e32 v25, v46, v25
	v_fmamk_f16 v26, v54, 0x2fb7, v55
	v_mul_f16_e32 v46, 0x2fb7, v9
	v_add_f16_e32 v14, v18, v14
	v_add_f16_e32 v10, v10, v24
	v_mul_f16_e32 v24, 0xb3a8, v51
	v_add_f16_e32 v11, v26, v11
	v_fmamk_f16 v18, v25, 0x3bf1, v46
	v_fma_f16 v26, v54, 0x2fb7, -v55
	v_fmac_f16_e32 v46, 0xbbf1, v25
	v_mul_f16_e32 v50, 0xbbc4, v9
	v_add_f16_e32 v32, v53, v32
	v_add_f16_e32 v18, v18, v27
	v_fmamk_f16 v27, v54, 0xbbc4, v24
	v_add_f16_e32 v26, v26, v29
	v_add_f16_e32 v28, v46, v28
	v_fmamk_f16 v29, v25, 0x33a8, v50
	v_mul_f16_e32 v46, 0x3b7b, v51
	v_fma_f16 v24, v54, 0xbbc4, -v24
	v_fmac_f16_e32 v50, 0xb3a8, v25
	v_add_f16_e32 v27, v27, v30
	v_add_f16_e32 v29, v29, v33
	v_fmamk_f16 v30, v54, 0xb5ac, v46
	v_mul_f16_e32 v33, 0xb5ac, v9
	v_add_f16_e32 v24, v24, v31
	v_add_f16_e32 v31, v50, v35
	v_mul_f16_e32 v35, 0x3770, v51
	v_add_f16_e32 v30, v30, v37
	v_fmamk_f16 v37, v25, 0xbb7b, v33
	v_fmac_f16_e32 v33, 0x3b7b, v25
	v_mul_f16_e32 v53, 0x3b15, v9
	v_fmamk_f16 v50, v54, 0x3b15, v35
	v_fma_f16 v46, v54, 0xb5ac, -v46
	v_add_f16_e32 v37, v37, v40
	v_add_f16_e32 v33, v33, v38
	v_mul_f16_e32 v40, 0xba95, v51
	v_add_f16_e32 v38, v50, v39
	v_fmamk_f16 v39, v25, 0xb770, v53
	v_add_f16_e32 v34, v46, v34
	v_fma_f16 v35, v54, 0x3b15, -v35
	v_mul_f16_e32 v46, 0x388b, v9
	v_mul_f16_e32 v50, 0xb94e, v51
	v_add_f16_e32 v39, v39, v41
	v_fmamk_f16 v41, v54, 0x388b, v40
	v_fma_f16 v40, v54, 0x388b, -v40
	v_add_f16_e32 v35, v35, v36
	v_fmamk_f16 v36, v25, 0x3a95, v46
	v_fmac_f16_e32 v46, 0xba95, v25
	v_mul_f16_e32 v9, 0xb9fd, v9
	v_add_f16_e32 v40, v40, v43
	v_sub_f16_e32 v43, v19, v8
	v_add_f16_e32 v8, v19, v8
	v_add_f16_e32 v44, v46, v44
	;; [unrolled: 1-line block ×3, first 2 shown]
	v_fmac_f16_e32 v53, 0x3770, v25
	v_mul_f16_e32 v51, 0xbb7b, v43
	v_add_f16_e32 v41, v41, v45
	v_fmamk_f16 v45, v25, 0x394e, v9
	v_fma_f16 v19, v54, 0xb9fd, -v50
	v_fmac_f16_e32 v9, 0xb94e, v25
	v_sub_f16_e32 v21, v21, v22
	v_fmamk_f16 v22, v46, 0xb5ac, v51
	v_mul_f16_e32 v25, 0xb5ac, v8
	v_add_f16_e32 v32, v45, v32
	v_add_f16_e32 v14, v19, v14
	v_add_f16_e32 v9, v9, v10
	v_add_f16_e32 v10, v22, v11
	v_fmamk_f16 v11, v21, 0x3b7b, v25
	v_mul_f16_e32 v19, 0x394e, v43
	v_fma_f16 v22, v46, 0xb5ac, -v51
	v_fmac_f16_e32 v25, 0xbb7b, v21
	v_mul_f16_e32 v45, 0xb9fd, v8
	v_add_f16_e32 v11, v11, v18
	v_fmamk_f16 v18, v46, 0xb9fd, v19
	v_add_f16_e32 v22, v22, v26
	v_add_f16_e32 v25, v25, v28
	v_fmamk_f16 v26, v21, 0xb94e, v45
	v_mul_f16_e32 v28, 0x3770, v43
	v_fma_f16 v19, v46, 0xb9fd, -v19
	v_fmac_f16_e32 v45, 0x394e, v21
	v_add_f16_e32 v18, v18, v27
	v_add_f16_e32 v26, v26, v29
	v_fmamk_f16 v27, v46, 0x3b15, v28
	v_mul_f16_e32 v29, 0x3b15, v8
	v_add_f16_e32 v19, v19, v24
	v_add_f16_e32 v24, v45, v31
	v_mul_f16_e32 v31, 0xbbf1, v43
	v_add_f16_e32 v36, v36, v42
	v_fmamk_f16 v42, v54, 0xb9fd, v50
	v_add_f16_e32 v27, v27, v30
	v_fmamk_f16 v30, v21, 0xb770, v29
	v_fma_f16 v28, v46, 0x3b15, -v28
	v_fmac_f16_e32 v29, 0x3770, v21
	v_fmamk_f16 v45, v46, 0x2fb7, v31
	v_mul_f16_e32 v50, 0x2fb7, v8
	v_add_f16_e32 v30, v30, v37
	v_add_f16_e32 v28, v28, v34
	;; [unrolled: 1-line block ×4, first 2 shown]
	v_fmamk_f16 v34, v21, 0x3bf1, v50
	v_mul_f16_e32 v37, 0x33a8, v43
	v_fma_f16 v31, v46, 0x2fb7, -v31
	v_mul_f16_e32 v38, 0xbbc4, v8
	v_mul_f16_e32 v43, 0x3a95, v43
	v_add_f16_e32 v34, v34, v39
	v_fmamk_f16 v39, v46, 0xbbc4, v37
	v_add_f16_e32 v31, v31, v35
	v_fmamk_f16 v35, v21, 0xb3a8, v38
	v_fma_f16 v37, v46, 0xbbc4, -v37
	v_add_f16_e32 v42, v42, v52
	v_fmac_f16_e32 v38, 0x33a8, v21
	v_mul_f16_e32 v8, 0x388b, v8
	v_add_f16_e32 v35, v35, v36
	v_fmamk_f16 v36, v46, 0x388b, v43
	v_add_f16_e32 v37, v37, v40
	v_sub_f16_e32 v40, v17, v15
	v_add_f16_e32 v38, v38, v44
	v_add_f16_e32 v15, v17, v15
	;; [unrolled: 1-line block ×4, first 2 shown]
	v_mul_f16_e32 v44, 0xb94e, v40
	v_fmac_f16_e32 v50, 0xbbf1, v21
	v_add_f16_e32 v39, v39, v41
	v_fmamk_f16 v41, v21, 0xba95, v8
	v_fma_f16 v17, v46, 0x388b, -v43
	v_fmac_f16_e32 v8, 0x3a95, v21
	v_sub_f16_e32 v16, v16, v23
	v_fmamk_f16 v21, v42, 0xb9fd, v44
	v_mul_f16_e32 v23, 0xb9fd, v15
	v_add_f16_e32 v32, v41, v32
	v_add_f16_e32 v14, v17, v14
	v_add_f16_e32 v8, v8, v9
	v_add_f16_e32 v9, v21, v10
	v_fmamk_f16 v10, v16, 0x394e, v23
	v_mul_f16_e32 v17, 0x3bf1, v40
	v_fma_f16 v21, v42, 0xb9fd, -v44
	v_fmac_f16_e32 v23, 0xb94e, v16
	v_mul_f16_e32 v41, 0x2fb7, v15
	v_add_f16_e32 v10, v10, v11
	v_fmamk_f16 v11, v42, 0x2fb7, v17
	v_add_f16_e32 v21, v21, v22
	v_add_f16_e32 v22, v23, v25
	v_fmamk_f16 v23, v16, 0xbbf1, v41
	v_mul_f16_e32 v25, 0xba95, v40
	v_add_f16_e32 v11, v11, v18
	v_fma_f16 v17, v42, 0x2fb7, -v17
	v_fmac_f16_e32 v41, 0x3bf1, v16
	v_add_f16_e32 v18, v23, v26
	v_fmamk_f16 v23, v42, 0x388b, v25
	v_mul_f16_e32 v26, 0x388b, v15
	v_add_f16_e32 v17, v17, v19
	v_add_f16_e32 v19, v41, v24
	v_mul_f16_e32 v24, 0x33a8, v40
	v_add_f16_e32 v23, v23, v27
	v_fmamk_f16 v27, v16, 0x3a95, v26
	v_fmac_f16_e32 v26, 0xba95, v16
	v_mul_f16_e32 v43, 0xbbc4, v15
	v_fma_f16 v25, v42, 0x388b, -v25
	v_fmamk_f16 v41, v42, 0xbbc4, v24
	v_add_f16_e32 v27, v27, v30
	v_add_f16_e32 v26, v26, v29
	v_fmamk_f16 v29, v16, 0xb3a8, v43
	v_mul_f16_e32 v30, 0x3770, v40
	v_add_f16_e32 v25, v25, v28
	v_add_f16_e32 v28, v41, v33
	v_fma_f16 v24, v42, 0xbbc4, -v24
	v_mul_f16_e32 v33, 0x3b15, v15
	v_add_f16_e32 v29, v29, v34
	v_fmamk_f16 v34, v42, 0x3b15, v30
	v_fma_f16 v30, v42, 0x3b15, -v30
	v_add_f16_e32 v24, v24, v31
	v_fmamk_f16 v31, v16, 0xb770, v33
	v_mul_f16_e32 v40, 0xbb7b, v40
	v_fmac_f16_e32 v33, 0x3770, v16
	v_add_f16_e32 v30, v30, v37
	v_sub_f16_e32 v37, v12, v13
	v_add_f16_e32 v34, v34, v39
	v_add_f16_e32 v31, v31, v35
	v_fmamk_f16 v35, v42, 0xb5ac, v40
	v_mul_f16_e32 v15, 0xb5ac, v15
	v_add_f16_e32 v33, v33, v38
	v_add_f16_e32 v38, v4, v6
	v_mul_f16_e32 v39, 0xb3a8, v37
	v_add_f16_e32 v12, v12, v13
	v_fmac_f16_e32 v43, 0x33a8, v16
	v_add_f16_e32 v35, v35, v36
	v_fmamk_f16 v36, v16, 0x3b7b, v15
	v_fma_f16 v13, v42, 0xb5ac, -v40
	v_fmac_f16_e32 v15, 0xbb7b, v16
	v_sub_f16_e32 v4, v4, v6
	v_fmamk_f16 v6, v38, 0xbbc4, v39
	v_mul_f16_e32 v16, 0xbbc4, v12
	v_add_f16_e32 v32, v36, v32
	v_add_f16_e32 v13, v13, v14
	;; [unrolled: 1-line block ×4, first 2 shown]
	v_fmamk_f16 v9, v4, 0x33a8, v16
	v_mul_f16_e32 v14, 0x3770, v37
	v_fma_f16 v15, v38, 0xbbc4, -v39
	v_fmac_f16_e32 v16, 0xb3a8, v4
	v_mul_f16_e32 v36, 0x3b15, v12
	v_add_f16_e32 v9, v9, v10
	v_fmamk_f16 v10, v38, 0x3b15, v14
	v_add_f16_e32 v15, v15, v21
	v_add_f16_e32 v16, v16, v22
	v_fmamk_f16 v21, v4, 0xb770, v36
	v_mul_f16_e32 v22, 0xb94e, v37
	v_add_f16_e32 v10, v10, v11
	v_fma_f16 v11, v38, 0x3b15, -v14
	v_fmac_f16_e32 v36, 0x3770, v4
	v_add_f16_e32 v14, v21, v18
	v_fmamk_f16 v18, v38, 0xb9fd, v22
	v_mul_f16_e32 v21, 0xb9fd, v12
	v_add_f16_e32 v11, v11, v17
	v_add_f16_e32 v17, v36, v19
	v_mul_f16_e32 v19, 0x3a95, v37
	v_add_f16_e32 v18, v18, v23
	v_fmamk_f16 v23, v4, 0x394e, v21
	v_fmac_f16_e32 v21, 0xb94e, v4
	v_mul_f16_e32 v39, 0x388b, v12
	v_fma_f16 v22, v38, 0xb9fd, -v22
	v_fmamk_f16 v36, v38, 0x388b, v19
	v_add_f16_e32 v23, v23, v27
	v_add_f16_e32 v21, v21, v26
	v_fmamk_f16 v26, v4, 0xba95, v39
	v_mul_f16_e32 v27, 0xbb7b, v37
	v_add_f16_e32 v49, v57, v49
	v_add_f16_e32 v22, v22, v25
	;; [unrolled: 1-line block ×3, first 2 shown]
	v_mul_f16_e32 v28, 0xb5ac, v12
	v_add_f16_e32 v26, v26, v29
	v_fmamk_f16 v29, v38, 0xb5ac, v27
	v_add_f16_e32 v49, v53, v49
	v_fma_f16 v27, v38, 0xb5ac, -v27
	v_fmamk_f16 v36, v4, 0x3b7b, v28
	v_mul_f16_e32 v12, 0x2fb7, v12
	v_add_f16_e32 v29, v29, v34
	v_mul_f16_e32 v34, 0x3bf1, v37
	v_add_f16_e32 v45, v50, v49
	v_fmac_f16_e32 v28, 0xbb7b, v4
	v_add_f16_e32 v31, v36, v31
	v_add_f16_e32 v27, v27, v30
	v_fmamk_f16 v30, v38, 0x2fb7, v34
	v_fmamk_f16 v36, v4, 0xbbf1, v12
	v_fma_f16 v34, v38, 0x2fb7, -v34
	v_fmac_f16_e32 v12, 0x3bf1, v4
	v_add_f16_e32 v41, v43, v45
	v_fma_f16 v19, v38, 0x388b, -v19
	v_fmac_f16_e32 v39, 0x3a95, v4
	v_add_f16_e32 v4, v28, v33
	v_add_f16_e32 v28, v30, v35
	v_add_f16_e32 v30, v36, v32
	v_add_f16_e32 v13, v34, v13
	v_add_f16_e32 v8, v12, v8
	v_add_f16_e32 v19, v19, v24
	v_add_f16_e32 v24, v39, v41
	v_pack_b32_f16 v9, v6, v9
	v_pack_b32_f16 v12, v18, v23
	;; [unrolled: 1-line block ×3, first 2 shown]
	v_add_nc_u32_e32 v6, 0x600, v47
	v_pack_b32_f16 v26, v27, v4
	v_add_nc_u32_e32 v4, 0xe00, v47
	v_pack_b32_f16 v10, v10, v14
	;; [unrolled: 2-line block ×3, first 2 shown]
	v_pack_b32_f16 v25, v28, v30
	v_pack_b32_f16 v8, v13, v8
	v_add_nc_u32_e32 v13, 0xa00, v47
	v_pack_b32_f16 v19, v19, v24
	v_pack_b32_f16 v21, v22, v21
	;; [unrolled: 1-line block ×3, first 2 shown]
	v_add_nc_u32_e32 v17, 0x1200, v47
	v_pack_b32_f16 v15, v15, v16
	ds_store_b32 v47, v7
	ds_store_b32 v47, v9 offset:476
	ds_store_2addr_b32 v14, v10, v12 offset0:110 offset1:229
	ds_store_2addr_b32 v6, v18, v23 offset0:92 offset1:211
	;; [unrolled: 1-line block ×5, first 2 shown]
	ds_store_b32 v47, v15 offset:5712
	global_wb scope:SCOPE_SE
	s_wait_dscnt 0x0
	s_barrier_signal -1
	s_barrier_wait -1
	global_inv scope:SCOPE_SE
	s_and_b32 exec_lo, exec_lo, vcc_lo
	s_cbranch_execz .LBB0_23
; %bb.22:
	global_load_b32 v7, v47, s[12:13]
	ds_load_b32 v8, v47
	s_mov_b32 s8, 0x152e8015
	s_mov_b32 s9, 0x3f452e80
	v_mad_co_u64_u32 v[13:14], null, s4, v48, 0
	s_wait_dscnt 0x0
	v_lshrrev_b32_e32 v9, 16, v8
	s_wait_loadcnt 0x0
	v_lshrrev_b32_e32 v10, 16, v7
	s_delay_alu instid0(VALU_DEP_1) | instskip(SKIP_1) | instid1(VALU_DEP_2)
	v_mul_f16_e32 v11, v9, v10
	v_mul_f16_e32 v10, v8, v10
	v_fmac_f16_e32 v11, v8, v7
	s_delay_alu instid0(VALU_DEP_2) | instskip(NEXT) | instid1(VALU_DEP_2)
	v_fma_f16 v7, v7, v9, -v10
	v_cvt_f32_f16_e32 v8, v11
	s_delay_alu instid0(VALU_DEP_2) | instskip(SKIP_1) | instid1(VALU_DEP_3)
	v_cvt_f32_f16_e32 v9, v7
	v_mad_co_u64_u32 v[11:12], null, s6, v20, 0
	v_cvt_f64_f32_e32 v[7:8], v8
	s_delay_alu instid0(VALU_DEP_3) | instskip(SKIP_1) | instid1(VALU_DEP_2)
	v_cvt_f64_f32_e32 v[9:10], v9
	s_wait_alu 0xfffe
	v_mul_f64_e32 v[7:8], s[8:9], v[7:8]
	s_delay_alu instid0(VALU_DEP_2) | instskip(NEXT) | instid1(VALU_DEP_2)
	v_mul_f64_e32 v[9:10], s[8:9], v[9:10]
	v_and_or_b32 v7, 0x1ff, v8, v7
	s_delay_alu instid0(VALU_DEP_2)
	v_and_or_b32 v9, 0x1ff, v10, v9
	v_lshrrev_b32_e32 v15, 8, v8
	v_bfe_u32 v17, v8, 20, 11
	v_bfe_u32 v18, v10, 20, 11
	v_cmp_ne_u32_e32 vcc_lo, 0, v7
	v_lshrrev_b32_e32 v16, 8, v10
	v_mov_b32_e32 v7, v14
	v_sub_nc_u32_e32 v21, 0x3f1, v17
	v_sub_nc_u32_e32 v22, 0x3f1, v18
	v_cndmask_b32_e64 v19, 0, 1, vcc_lo
	v_cmp_ne_u32_e32 vcc_lo, 0, v9
	v_lshrrev_b32_e32 v10, 16, v10
	s_delay_alu instid0(VALU_DEP_3)
	v_and_or_b32 v19, 0xffe, v15, v19
	s_wait_alu 0xfffd
	v_cndmask_b32_e64 v9, 0, 1, vcc_lo
	v_mad_co_u64_u32 v[14:15], null, s7, v20, v[12:13]
	v_med3_i32 v20, v21, 0, 13
	v_med3_i32 v21, v22, 0, 13
	s_delay_alu instid0(VALU_DEP_4) | instskip(SKIP_2) | instid1(VALU_DEP_3)
	v_and_or_b32 v9, 0xffe, v16, v9
	v_or_b32_e32 v22, 0x1000, v19
	v_mov_b32_e32 v12, v14
	v_or_b32_e32 v23, 0x1000, v9
	v_mad_co_u64_u32 v[15:16], null, s5, v48, v[7:8]
	s_delay_alu instid0(VALU_DEP_4) | instskip(NEXT) | instid1(VALU_DEP_4)
	v_lshrrev_b32_e32 v7, v20, v22
	v_lshlrev_b64_e32 v[11:12], 2, v[11:12]
	s_delay_alu instid0(VALU_DEP_4) | instskip(SKIP_1) | instid1(VALU_DEP_3)
	v_lshrrev_b32_e32 v16, v21, v23
	s_mul_u64 s[4:5], s[4:5], 0x16c
	v_lshlrev_b32_e32 v20, v20, v7
	s_delay_alu instid0(VALU_DEP_2) | instskip(NEXT) | instid1(VALU_DEP_2)
	v_dual_mov_b32 v14, v15 :: v_dual_lshlrev_b32 v15, v21, v16
	v_cmp_ne_u32_e32 vcc_lo, v20, v22
	s_wait_alu 0xfffd
	v_cndmask_b32_e64 v20, 0, 1, vcc_lo
	s_delay_alu instid0(VALU_DEP_3) | instskip(NEXT) | instid1(VALU_DEP_2)
	v_cmp_ne_u32_e32 vcc_lo, v15, v23
	v_or_b32_e32 v7, v7, v20
	v_add_nc_u32_e32 v18, 0xfffffc10, v18
	s_wait_alu 0xfffd
	v_cndmask_b32_e64 v15, 0, 1, vcc_lo
	s_delay_alu instid0(VALU_DEP_2) | instskip(NEXT) | instid1(VALU_DEP_2)
	v_lshl_or_b32 v20, v18, 12, v9
	v_or_b32_e32 v15, v16, v15
	v_add_nc_u32_e32 v17, 0xfffffc10, v17
	v_lshrrev_b32_e32 v16, 16, v8
	s_delay_alu instid0(VALU_DEP_2) | instskip(SKIP_2) | instid1(VALU_DEP_2)
	v_lshl_or_b32 v21, v17, 12, v19
	v_cmp_gt_i32_e32 vcc_lo, 1, v17
	s_wait_alu 0xfffd
	v_cndmask_b32_e32 v7, v21, v7, vcc_lo
	v_cmp_gt_i32_e32 vcc_lo, 1, v18
	s_wait_alu 0xfffd
	v_cndmask_b32_e32 v8, v20, v15, vcc_lo
	v_cmp_ne_u32_e32 vcc_lo, 0, v19
	v_and_b32_e32 v19, 7, v7
	v_lshrrev_b32_e32 v7, 2, v7
	s_wait_alu 0xfffd
	v_cndmask_b32_e64 v15, 0, 1, vcc_lo
	v_cmp_ne_u32_e32 vcc_lo, 0, v9
	v_cmp_eq_u32_e64 s0, 3, v19
	s_delay_alu instid0(VALU_DEP_3) | instskip(SKIP_3) | instid1(VALU_DEP_2)
	v_lshl_or_b32 v15, v15, 9, 0x7c00
	s_wait_alu 0xfffd
	v_cndmask_b32_e64 v9, 0, 1, vcc_lo
	v_cmp_lt_i32_e32 vcc_lo, 5, v19
	v_lshl_or_b32 v9, v9, 9, 0x7c00
	s_or_b32 vcc_lo, s0, vcc_lo
	s_wait_alu 0xfffe
	v_add_co_ci_u32_e32 v7, vcc_lo, 0, v7, vcc_lo
	v_and_b32_e32 v20, 7, v8
	v_lshrrev_b32_e32 v8, 2, v8
	s_delay_alu instid0(VALU_DEP_2) | instskip(SKIP_1) | instid1(VALU_DEP_1)
	v_cmp_lt_i32_e64 s1, 5, v20
	v_cmp_eq_u32_e64 s2, 3, v20
	s_or_b32 vcc_lo, s2, s1
	s_wait_alu 0xfffe
	v_add_co_ci_u32_e32 v8, vcc_lo, 0, v8, vcc_lo
	v_cmp_gt_i32_e32 vcc_lo, 31, v17
	s_wait_alu 0xfffd
	v_cndmask_b32_e32 v7, 0x7c00, v7, vcc_lo
	v_cmp_gt_i32_e32 vcc_lo, 31, v18
	s_wait_alu 0xfffd
	v_cndmask_b32_e32 v19, 0x7c00, v8, vcc_lo
	v_cmp_eq_u32_e32 vcc_lo, 0x40f, v17
	s_wait_alu 0xfffd
	v_cndmask_b32_e32 v15, v7, v15, vcc_lo
	v_cmp_eq_u32_e32 vcc_lo, 0x40f, v18
	v_lshlrev_b64_e32 v[7:8], 2, v[13:14]
	s_delay_alu instid0(VALU_DEP_3)
	v_and_or_b32 v13, 0x8000, v16, v15
	s_wait_alu 0xfffd
	v_cndmask_b32_e32 v9, v19, v9, vcc_lo
	v_add_co_u32 v11, vcc_lo, s14, v11
	s_wait_alu 0xfffd
	v_add_co_ci_u32_e32 v12, vcc_lo, s15, v12, vcc_lo
	s_delay_alu instid0(VALU_DEP_3) | instskip(SKIP_4) | instid1(VALU_DEP_3)
	v_and_or_b32 v9, 0x8000, v10, v9
	v_and_b32_e32 v10, 0xffff, v13
	v_add_co_u32 v7, vcc_lo, v11, v7
	s_wait_alu 0xfffd
	v_add_co_ci_u32_e32 v8, vcc_lo, v12, v8, vcc_lo
	v_lshl_or_b32 v9, v9, 16, v10
	global_store_b32 v[7:8], v9, off
	global_load_b32 v11, v47, s[12:13] offset:364
	ds_load_2addr_b32 v[9:10], v47 offset0:91 offset1:182
	s_wait_dscnt 0x0
	v_lshrrev_b32_e32 v12, 16, v9
	s_wait_loadcnt 0x0
	v_lshrrev_b32_e32 v13, 16, v11
	s_delay_alu instid0(VALU_DEP_1) | instskip(SKIP_1) | instid1(VALU_DEP_2)
	v_mul_f16_e32 v14, v12, v13
	v_mul_f16_e32 v13, v9, v13
	v_fmac_f16_e32 v14, v9, v11
	s_delay_alu instid0(VALU_DEP_2) | instskip(NEXT) | instid1(VALU_DEP_2)
	v_fma_f16 v9, v11, v12, -v13
	v_cvt_f32_f16_e32 v11, v14
	s_delay_alu instid0(VALU_DEP_2) | instskip(NEXT) | instid1(VALU_DEP_2)
	v_cvt_f32_f16_e32 v9, v9
	v_cvt_f64_f32_e32 v[11:12], v11
	s_delay_alu instid0(VALU_DEP_2) | instskip(NEXT) | instid1(VALU_DEP_2)
	v_cvt_f64_f32_e32 v[13:14], v9
	v_mul_f64_e32 v[11:12], s[8:9], v[11:12]
	s_delay_alu instid0(VALU_DEP_2) | instskip(NEXT) | instid1(VALU_DEP_2)
	v_mul_f64_e32 v[13:14], s[8:9], v[13:14]
	v_and_or_b32 v9, 0x1ff, v12, v11
	s_delay_alu instid0(VALU_DEP_2)
	v_and_or_b32 v13, 0x1ff, v14, v13
	v_lshrrev_b32_e32 v11, 8, v12
	v_bfe_u32 v15, v12, 20, 11
	v_lshrrev_b32_e32 v16, 8, v14
	v_cmp_ne_u32_e32 vcc_lo, 0, v9
	v_bfe_u32 v17, v14, 20, 11
	v_lshrrev_b32_e32 v12, 16, v12
	v_sub_nc_u32_e32 v18, 0x3f1, v15
	v_add_nc_u32_e32 v15, 0xfffffc10, v15
	s_wait_alu 0xfffd
	v_cndmask_b32_e64 v9, 0, 1, vcc_lo
	v_cmp_ne_u32_e32 vcc_lo, 0, v13
	v_lshrrev_b32_e32 v14, 16, v14
	s_delay_alu instid0(VALU_DEP_3) | instskip(SKIP_4) | instid1(VALU_DEP_3)
	v_and_or_b32 v9, 0xffe, v11, v9
	s_wait_alu 0xfffd
	v_cndmask_b32_e64 v13, 0, 1, vcc_lo
	v_sub_nc_u32_e32 v11, 0x3f1, v17
	v_add_nc_u32_e32 v17, 0xfffffc10, v17
	v_and_or_b32 v13, 0xffe, v16, v13
	v_med3_i32 v16, v18, 0, 13
	v_or_b32_e32 v18, 0x1000, v9
	v_med3_i32 v11, v11, 0, 13
	s_delay_alu instid0(VALU_DEP_4) | instskip(NEXT) | instid1(VALU_DEP_3)
	v_or_b32_e32 v19, 0x1000, v13
	v_lshrrev_b32_e32 v20, v16, v18
	s_delay_alu instid0(VALU_DEP_2) | instskip(NEXT) | instid1(VALU_DEP_2)
	v_lshrrev_b32_e32 v21, v11, v19
	v_lshlrev_b32_e32 v16, v16, v20
	s_delay_alu instid0(VALU_DEP_2) | instskip(NEXT) | instid1(VALU_DEP_2)
	v_lshlrev_b32_e32 v11, v11, v21
	v_cmp_ne_u32_e32 vcc_lo, v16, v18
	v_lshl_or_b32 v18, v15, 12, v9
	s_wait_alu 0xfffd
	v_cndmask_b32_e64 v16, 0, 1, vcc_lo
	v_cmp_ne_u32_e32 vcc_lo, v11, v19
	v_lshl_or_b32 v19, v17, 12, v13
	s_delay_alu instid0(VALU_DEP_3) | instskip(SKIP_3) | instid1(VALU_DEP_2)
	v_or_b32_e32 v16, v20, v16
	s_wait_alu 0xfffd
	v_cndmask_b32_e64 v11, 0, 1, vcc_lo
	v_cmp_gt_i32_e32 vcc_lo, 1, v15
	v_or_b32_e32 v11, v21, v11
	s_wait_alu 0xfffd
	v_cndmask_b32_e32 v16, v18, v16, vcc_lo
	v_cmp_gt_i32_e32 vcc_lo, 1, v17
	s_wait_alu 0xfffd
	s_delay_alu instid0(VALU_DEP_2) | instskip(SKIP_2) | instid1(VALU_DEP_3)
	v_dual_cndmask_b32 v11, v19, v11 :: v_dual_and_b32 v18, 7, v16
	v_cmp_ne_u32_e32 vcc_lo, 0, v9
	v_lshrrev_b32_e32 v16, 2, v16
	v_cmp_eq_u32_e64 s0, 3, v18
	s_delay_alu instid0(VALU_DEP_4)
	v_and_b32_e32 v19, 7, v11
	s_wait_alu 0xfffd
	v_cndmask_b32_e64 v9, 0, 1, vcc_lo
	v_cmp_ne_u32_e32 vcc_lo, 0, v13
	v_lshrrev_b32_e32 v11, 2, v11
	v_cmp_lt_i32_e64 s1, 5, v19
	v_cmp_eq_u32_e64 s2, 3, v19
	s_wait_alu 0xfffd
	v_cndmask_b32_e64 v13, 0, 1, vcc_lo
	v_cmp_lt_i32_e32 vcc_lo, 5, v18
	v_lshl_or_b32 v9, v9, 9, 0x7c00
	s_delay_alu instid0(VALU_DEP_3)
	v_lshl_or_b32 v13, v13, 9, 0x7c00
	s_or_b32 vcc_lo, s0, vcc_lo
	s_wait_alu 0xfffe
	v_add_co_ci_u32_e32 v16, vcc_lo, 0, v16, vcc_lo
	s_or_b32 vcc_lo, s2, s1
	s_wait_alu 0xfffe
	v_add_co_ci_u32_e32 v11, vcc_lo, 0, v11, vcc_lo
	v_cmp_gt_i32_e32 vcc_lo, 31, v15
	s_wait_alu 0xfffd
	v_cndmask_b32_e32 v16, 0x7c00, v16, vcc_lo
	v_cmp_gt_i32_e32 vcc_lo, 31, v17
	s_wait_alu 0xfffd
	v_cndmask_b32_e32 v11, 0x7c00, v11, vcc_lo
	v_cmp_eq_u32_e32 vcc_lo, 0x40f, v15
	s_wait_alu 0xfffd
	v_cndmask_b32_e32 v9, v16, v9, vcc_lo
	v_cmp_eq_u32_e32 vcc_lo, 0x40f, v17
	s_delay_alu instid0(VALU_DEP_2)
	v_and_or_b32 v9, 0x8000, v12, v9
	s_wait_alu 0xfffd
	v_cndmask_b32_e32 v11, v11, v13, vcc_lo
	v_add_co_u32 v7, vcc_lo, v7, s4
	s_wait_alu 0xfffd
	v_add_co_ci_u32_e32 v8, vcc_lo, s5, v8, vcc_lo
	s_delay_alu instid0(VALU_DEP_3) | instskip(SKIP_1) | instid1(VALU_DEP_1)
	v_and_or_b32 v11, 0x8000, v14, v11
	v_and_b32_e32 v9, 0xffff, v9
	v_lshl_or_b32 v9, v11, 16, v9
	v_lshrrev_b32_e32 v11, 16, v10
	global_store_b32 v[7:8], v9, off
	global_load_b32 v9, v47, s[12:13] offset:728
	s_wait_loadcnt 0x0
	v_lshrrev_b32_e32 v12, 16, v9
	s_delay_alu instid0(VALU_DEP_1) | instskip(SKIP_1) | instid1(VALU_DEP_2)
	v_mul_f16_e32 v13, v11, v12
	v_mul_f16_e32 v12, v10, v12
	v_fmac_f16_e32 v13, v10, v9
	s_delay_alu instid0(VALU_DEP_2) | instskip(NEXT) | instid1(VALU_DEP_2)
	v_fma_f16 v9, v9, v11, -v12
	v_cvt_f32_f16_e32 v10, v13
	s_delay_alu instid0(VALU_DEP_2) | instskip(NEXT) | instid1(VALU_DEP_2)
	v_cvt_f32_f16_e32 v11, v9
	v_cvt_f64_f32_e32 v[9:10], v10
	s_delay_alu instid0(VALU_DEP_2) | instskip(NEXT) | instid1(VALU_DEP_2)
	v_cvt_f64_f32_e32 v[11:12], v11
	v_mul_f64_e32 v[9:10], s[8:9], v[9:10]
	s_delay_alu instid0(VALU_DEP_2) | instskip(NEXT) | instid1(VALU_DEP_2)
	v_mul_f64_e32 v[11:12], s[8:9], v[11:12]
	v_and_or_b32 v9, 0x1ff, v10, v9
	s_delay_alu instid0(VALU_DEP_2)
	v_and_or_b32 v11, 0x1ff, v12, v11
	v_lshrrev_b32_e32 v13, 8, v10
	v_bfe_u32 v14, v10, 20, 11
	v_lshrrev_b32_e32 v15, 8, v12
	v_cmp_ne_u32_e32 vcc_lo, 0, v9
	v_bfe_u32 v16, v12, 20, 11
	v_lshrrev_b32_e32 v10, 16, v10
	v_sub_nc_u32_e32 v17, 0x3f1, v14
	v_add_nc_u32_e32 v14, 0xfffffc10, v14
	s_wait_alu 0xfffd
	v_cndmask_b32_e64 v9, 0, 1, vcc_lo
	v_cmp_ne_u32_e32 vcc_lo, 0, v11
	v_lshrrev_b32_e32 v12, 16, v12
	s_delay_alu instid0(VALU_DEP_3) | instskip(SKIP_4) | instid1(VALU_DEP_3)
	v_and_or_b32 v9, 0xffe, v13, v9
	s_wait_alu 0xfffd
	v_cndmask_b32_e64 v11, 0, 1, vcc_lo
	v_sub_nc_u32_e32 v13, 0x3f1, v16
	v_add_nc_u32_e32 v16, 0xfffffc10, v16
	v_and_or_b32 v11, 0xffe, v15, v11
	v_med3_i32 v15, v17, 0, 13
	v_or_b32_e32 v17, 0x1000, v9
	v_med3_i32 v13, v13, 0, 13
	s_delay_alu instid0(VALU_DEP_4) | instskip(NEXT) | instid1(VALU_DEP_3)
	v_or_b32_e32 v18, 0x1000, v11
	v_lshrrev_b32_e32 v19, v15, v17
	s_delay_alu instid0(VALU_DEP_2) | instskip(NEXT) | instid1(VALU_DEP_2)
	v_lshrrev_b32_e32 v20, v13, v18
	v_lshlrev_b32_e32 v15, v15, v19
	s_delay_alu instid0(VALU_DEP_2) | instskip(NEXT) | instid1(VALU_DEP_2)
	v_lshlrev_b32_e32 v13, v13, v20
	v_cmp_ne_u32_e32 vcc_lo, v15, v17
	v_lshl_or_b32 v17, v14, 12, v9
	s_wait_alu 0xfffd
	v_cndmask_b32_e64 v15, 0, 1, vcc_lo
	v_cmp_ne_u32_e32 vcc_lo, v13, v18
	v_lshl_or_b32 v18, v16, 12, v11
	s_delay_alu instid0(VALU_DEP_3) | instskip(SKIP_3) | instid1(VALU_DEP_2)
	v_or_b32_e32 v15, v19, v15
	s_wait_alu 0xfffd
	v_cndmask_b32_e64 v13, 0, 1, vcc_lo
	v_cmp_gt_i32_e32 vcc_lo, 1, v14
	v_or_b32_e32 v13, v20, v13
	s_wait_alu 0xfffd
	v_cndmask_b32_e32 v15, v17, v15, vcc_lo
	v_cmp_gt_i32_e32 vcc_lo, 1, v16
	s_delay_alu instid0(VALU_DEP_2)
	v_and_b32_e32 v17, 7, v15
	s_wait_alu 0xfffd
	v_cndmask_b32_e32 v13, v18, v13, vcc_lo
	v_cmp_ne_u32_e32 vcc_lo, 0, v9
	v_lshrrev_b32_e32 v15, 2, v15
	v_cmp_eq_u32_e64 s0, 3, v17
	s_delay_alu instid0(VALU_DEP_4)
	v_and_b32_e32 v18, 7, v13
	s_wait_alu 0xfffd
	v_cndmask_b32_e64 v9, 0, 1, vcc_lo
	v_cmp_ne_u32_e32 vcc_lo, 0, v11
	v_lshrrev_b32_e32 v13, 2, v13
	v_cmp_lt_i32_e64 s1, 5, v18
	v_cmp_eq_u32_e64 s2, 3, v18
	s_wait_alu 0xfffd
	v_cndmask_b32_e64 v11, 0, 1, vcc_lo
	v_cmp_lt_i32_e32 vcc_lo, 5, v17
	v_lshl_or_b32 v9, v9, 9, 0x7c00
	s_delay_alu instid0(VALU_DEP_3)
	v_lshl_or_b32 v11, v11, 9, 0x7c00
	s_or_b32 vcc_lo, s0, vcc_lo
	s_wait_alu 0xfffe
	v_add_co_ci_u32_e32 v15, vcc_lo, 0, v15, vcc_lo
	s_or_b32 vcc_lo, s2, s1
	s_wait_alu 0xfffe
	v_add_co_ci_u32_e32 v13, vcc_lo, 0, v13, vcc_lo
	v_cmp_gt_i32_e32 vcc_lo, 31, v14
	s_wait_alu 0xfffd
	v_cndmask_b32_e32 v15, 0x7c00, v15, vcc_lo
	v_cmp_gt_i32_e32 vcc_lo, 31, v16
	s_wait_alu 0xfffd
	v_cndmask_b32_e32 v13, 0x7c00, v13, vcc_lo
	v_cmp_eq_u32_e32 vcc_lo, 0x40f, v14
	s_wait_alu 0xfffd
	v_cndmask_b32_e32 v9, v15, v9, vcc_lo
	v_cmp_eq_u32_e32 vcc_lo, 0x40f, v16
	s_delay_alu instid0(VALU_DEP_2)
	v_and_or_b32 v9, 0x8000, v10, v9
	s_wait_alu 0xfffd
	v_cndmask_b32_e32 v11, v13, v11, vcc_lo
	v_add_co_u32 v7, vcc_lo, v7, s4
	s_wait_alu 0xfffd
	v_add_co_ci_u32_e32 v8, vcc_lo, s5, v8, vcc_lo
	s_delay_alu instid0(VALU_DEP_3) | instskip(SKIP_1) | instid1(VALU_DEP_1)
	v_and_or_b32 v10, 0x8000, v12, v11
	v_and_b32_e32 v9, 0xffff, v9
	v_lshl_or_b32 v9, v10, 16, v9
	global_store_b32 v[7:8], v9, off
	global_load_b32 v11, v47, s[12:13] offset:1092
	ds_load_2addr_b32 v[9:10], v5 offset0:17 offset1:108
	s_wait_dscnt 0x0
	v_lshrrev_b32_e32 v5, 16, v9
	s_wait_loadcnt 0x0
	v_lshrrev_b32_e32 v12, 16, v11
	s_delay_alu instid0(VALU_DEP_1) | instskip(SKIP_1) | instid1(VALU_DEP_2)
	v_mul_f16_e32 v13, v5, v12
	v_mul_f16_e32 v12, v9, v12
	v_fmac_f16_e32 v13, v9, v11
	s_delay_alu instid0(VALU_DEP_2) | instskip(NEXT) | instid1(VALU_DEP_2)
	v_fma_f16 v5, v11, v5, -v12
	v_cvt_f32_f16_e32 v9, v13
	s_delay_alu instid0(VALU_DEP_2) | instskip(NEXT) | instid1(VALU_DEP_2)
	v_cvt_f32_f16_e32 v5, v5
	v_cvt_f64_f32_e32 v[11:12], v9
	s_delay_alu instid0(VALU_DEP_2) | instskip(NEXT) | instid1(VALU_DEP_2)
	v_cvt_f64_f32_e32 v[13:14], v5
	v_mul_f64_e32 v[11:12], s[8:9], v[11:12]
	s_delay_alu instid0(VALU_DEP_2) | instskip(NEXT) | instid1(VALU_DEP_2)
	v_mul_f64_e32 v[13:14], s[8:9], v[13:14]
	v_and_or_b32 v5, 0x1ff, v12, v11
	s_delay_alu instid0(VALU_DEP_2)
	v_and_or_b32 v13, 0x1ff, v14, v13
	v_lshrrev_b32_e32 v9, 8, v12
	v_bfe_u32 v11, v12, 20, 11
	v_lshrrev_b32_e32 v15, 8, v14
	v_cmp_ne_u32_e32 vcc_lo, 0, v5
	v_bfe_u32 v16, v14, 20, 11
	v_lshrrev_b32_e32 v12, 16, v12
	v_sub_nc_u32_e32 v17, 0x3f1, v11
	v_add_nc_u32_e32 v11, 0xfffffc10, v11
	s_wait_alu 0xfffd
	v_cndmask_b32_e64 v5, 0, 1, vcc_lo
	v_cmp_ne_u32_e32 vcc_lo, 0, v13
	s_delay_alu instid0(VALU_DEP_2) | instskip(SKIP_4) | instid1(VALU_DEP_3)
	v_and_or_b32 v5, 0xffe, v9, v5
	s_wait_alu 0xfffd
	v_cndmask_b32_e64 v13, 0, 1, vcc_lo
	v_sub_nc_u32_e32 v9, 0x3f1, v16
	v_add_nc_u32_e32 v16, 0xfffffc10, v16
	v_and_or_b32 v13, 0xffe, v15, v13
	v_med3_i32 v15, v17, 0, 13
	v_or_b32_e32 v17, 0x1000, v5
	v_med3_i32 v9, v9, 0, 13
	s_delay_alu instid0(VALU_DEP_4) | instskip(NEXT) | instid1(VALU_DEP_3)
	v_or_b32_e32 v18, 0x1000, v13
	v_lshrrev_b32_e32 v19, v15, v17
	s_delay_alu instid0(VALU_DEP_2) | instskip(NEXT) | instid1(VALU_DEP_2)
	v_lshrrev_b32_e32 v20, v9, v18
	v_lshlrev_b32_e32 v15, v15, v19
	s_delay_alu instid0(VALU_DEP_2) | instskip(NEXT) | instid1(VALU_DEP_2)
	v_lshlrev_b32_e32 v9, v9, v20
	v_cmp_ne_u32_e32 vcc_lo, v15, v17
	v_lshl_or_b32 v17, v11, 12, v5
	s_wait_alu 0xfffd
	v_cndmask_b32_e64 v15, 0, 1, vcc_lo
	v_cmp_ne_u32_e32 vcc_lo, v9, v18
	v_lshl_or_b32 v18, v16, 12, v13
	s_delay_alu instid0(VALU_DEP_3) | instskip(SKIP_3) | instid1(VALU_DEP_2)
	v_or_b32_e32 v15, v19, v15
	s_wait_alu 0xfffd
	v_cndmask_b32_e64 v9, 0, 1, vcc_lo
	v_cmp_gt_i32_e32 vcc_lo, 1, v11
	v_or_b32_e32 v9, v20, v9
	s_wait_alu 0xfffd
	v_cndmask_b32_e32 v15, v17, v15, vcc_lo
	v_cmp_gt_i32_e32 vcc_lo, 1, v16
	s_delay_alu instid0(VALU_DEP_2)
	v_and_b32_e32 v17, 7, v15
	s_wait_alu 0xfffd
	v_cndmask_b32_e32 v9, v18, v9, vcc_lo
	v_cmp_ne_u32_e32 vcc_lo, 0, v5
	v_lshrrev_b32_e32 v15, 2, v15
	v_cmp_eq_u32_e64 s0, 3, v17
	s_delay_alu instid0(VALU_DEP_4)
	v_and_b32_e32 v18, 7, v9
	s_wait_alu 0xfffd
	v_cndmask_b32_e64 v5, 0, 1, vcc_lo
	v_cmp_ne_u32_e32 vcc_lo, 0, v13
	v_lshrrev_b32_e32 v9, 2, v9
	v_cmp_lt_i32_e64 s1, 5, v18
	v_cmp_eq_u32_e64 s2, 3, v18
	s_wait_alu 0xfffd
	v_cndmask_b32_e64 v13, 0, 1, vcc_lo
	v_cmp_lt_i32_e32 vcc_lo, 5, v17
	v_lshl_or_b32 v5, v5, 9, 0x7c00
	s_delay_alu instid0(VALU_DEP_3)
	v_lshl_or_b32 v13, v13, 9, 0x7c00
	s_or_b32 vcc_lo, s0, vcc_lo
	s_wait_alu 0xfffe
	v_add_co_ci_u32_e32 v15, vcc_lo, 0, v15, vcc_lo
	s_or_b32 vcc_lo, s2, s1
	s_wait_alu 0xfffe
	v_add_co_ci_u32_e32 v9, vcc_lo, 0, v9, vcc_lo
	v_cmp_gt_i32_e32 vcc_lo, 31, v11
	s_wait_alu 0xfffd
	v_cndmask_b32_e32 v15, 0x7c00, v15, vcc_lo
	v_cmp_gt_i32_e32 vcc_lo, 31, v16
	s_wait_alu 0xfffd
	v_cndmask_b32_e32 v9, 0x7c00, v9, vcc_lo
	v_cmp_eq_u32_e32 vcc_lo, 0x40f, v11
	v_lshrrev_b32_e32 v11, 16, v14
	s_wait_alu 0xfffd
	v_cndmask_b32_e32 v5, v15, v5, vcc_lo
	v_cmp_eq_u32_e32 vcc_lo, 0x40f, v16
	s_delay_alu instid0(VALU_DEP_2)
	v_and_or_b32 v5, 0x8000, v12, v5
	s_wait_alu 0xfffd
	v_cndmask_b32_e32 v9, v9, v13, vcc_lo
	v_add_co_u32 v7, vcc_lo, v7, s4
	s_wait_alu 0xfffd
	v_add_co_ci_u32_e32 v8, vcc_lo, s5, v8, vcc_lo
	s_delay_alu instid0(VALU_DEP_3) | instskip(SKIP_1) | instid1(VALU_DEP_1)
	v_and_or_b32 v9, 0x8000, v11, v9
	v_and_b32_e32 v5, 0xffff, v5
	v_lshl_or_b32 v5, v9, 16, v5
	v_lshrrev_b32_e32 v9, 16, v10
	global_store_b32 v[7:8], v5, off
	global_load_b32 v5, v47, s[12:13] offset:1456
	s_wait_loadcnt 0x0
	v_lshrrev_b32_e32 v11, 16, v5
	s_delay_alu instid0(VALU_DEP_1) | instskip(SKIP_1) | instid1(VALU_DEP_2)
	v_mul_f16_e32 v12, v9, v11
	v_mul_f16_e32 v11, v10, v11
	v_fmac_f16_e32 v12, v10, v5
	s_delay_alu instid0(VALU_DEP_2) | instskip(NEXT) | instid1(VALU_DEP_2)
	v_fma_f16 v5, v5, v9, -v11
	v_cvt_f32_f16_e32 v9, v12
	s_delay_alu instid0(VALU_DEP_2) | instskip(NEXT) | instid1(VALU_DEP_2)
	v_cvt_f32_f16_e32 v5, v5
	v_cvt_f64_f32_e32 v[9:10], v9
	s_delay_alu instid0(VALU_DEP_2) | instskip(NEXT) | instid1(VALU_DEP_2)
	v_cvt_f64_f32_e32 v[11:12], v5
	v_mul_f64_e32 v[9:10], s[8:9], v[9:10]
	s_delay_alu instid0(VALU_DEP_2) | instskip(NEXT) | instid1(VALU_DEP_2)
	v_mul_f64_e32 v[11:12], s[8:9], v[11:12]
	v_and_or_b32 v5, 0x1ff, v10, v9
	s_delay_alu instid0(VALU_DEP_2)
	v_and_or_b32 v11, 0x1ff, v12, v11
	v_lshrrev_b32_e32 v9, 8, v10
	v_bfe_u32 v13, v10, 20, 11
	v_lshrrev_b32_e32 v14, 8, v12
	v_cmp_ne_u32_e32 vcc_lo, 0, v5
	v_bfe_u32 v15, v12, 20, 11
	v_lshrrev_b32_e32 v10, 16, v10
	v_sub_nc_u32_e32 v16, 0x3f1, v13
	v_add_nc_u32_e32 v13, 0xfffffc10, v13
	s_wait_alu 0xfffd
	v_cndmask_b32_e64 v5, 0, 1, vcc_lo
	v_cmp_ne_u32_e32 vcc_lo, 0, v11
	v_lshrrev_b32_e32 v12, 16, v12
	s_delay_alu instid0(VALU_DEP_3) | instskip(SKIP_4) | instid1(VALU_DEP_3)
	v_and_or_b32 v5, 0xffe, v9, v5
	s_wait_alu 0xfffd
	v_cndmask_b32_e64 v11, 0, 1, vcc_lo
	v_sub_nc_u32_e32 v9, 0x3f1, v15
	v_add_nc_u32_e32 v15, 0xfffffc10, v15
	v_and_or_b32 v11, 0xffe, v14, v11
	v_med3_i32 v14, v16, 0, 13
	v_or_b32_e32 v16, 0x1000, v5
	v_med3_i32 v9, v9, 0, 13
	s_delay_alu instid0(VALU_DEP_4) | instskip(NEXT) | instid1(VALU_DEP_3)
	v_or_b32_e32 v17, 0x1000, v11
	v_lshrrev_b32_e32 v18, v14, v16
	s_delay_alu instid0(VALU_DEP_2) | instskip(NEXT) | instid1(VALU_DEP_2)
	v_lshrrev_b32_e32 v19, v9, v17
	v_lshlrev_b32_e32 v14, v14, v18
	s_delay_alu instid0(VALU_DEP_2) | instskip(NEXT) | instid1(VALU_DEP_2)
	v_lshlrev_b32_e32 v9, v9, v19
	v_cmp_ne_u32_e32 vcc_lo, v14, v16
	v_lshl_or_b32 v16, v13, 12, v5
	s_wait_alu 0xfffd
	v_cndmask_b32_e64 v14, 0, 1, vcc_lo
	v_cmp_ne_u32_e32 vcc_lo, v9, v17
	v_lshl_or_b32 v17, v15, 12, v11
	s_delay_alu instid0(VALU_DEP_3) | instskip(SKIP_3) | instid1(VALU_DEP_2)
	v_or_b32_e32 v14, v18, v14
	s_wait_alu 0xfffd
	v_cndmask_b32_e64 v9, 0, 1, vcc_lo
	v_cmp_gt_i32_e32 vcc_lo, 1, v13
	v_or_b32_e32 v9, v19, v9
	s_wait_alu 0xfffd
	v_cndmask_b32_e32 v14, v16, v14, vcc_lo
	v_cmp_gt_i32_e32 vcc_lo, 1, v15
	s_wait_alu 0xfffd
	s_delay_alu instid0(VALU_DEP_2) | instskip(SKIP_2) | instid1(VALU_DEP_3)
	v_dual_cndmask_b32 v9, v17, v9 :: v_dual_and_b32 v16, 7, v14
	v_cmp_ne_u32_e32 vcc_lo, 0, v5
	v_lshrrev_b32_e32 v14, 2, v14
	v_cmp_eq_u32_e64 s0, 3, v16
	s_delay_alu instid0(VALU_DEP_4)
	v_and_b32_e32 v17, 7, v9
	s_wait_alu 0xfffd
	v_cndmask_b32_e64 v5, 0, 1, vcc_lo
	v_cmp_ne_u32_e32 vcc_lo, 0, v11
	v_lshrrev_b32_e32 v9, 2, v9
	v_cmp_lt_i32_e64 s1, 5, v17
	v_cmp_eq_u32_e64 s2, 3, v17
	s_wait_alu 0xfffd
	v_cndmask_b32_e64 v11, 0, 1, vcc_lo
	v_cmp_lt_i32_e32 vcc_lo, 5, v16
	v_lshl_or_b32 v5, v5, 9, 0x7c00
	s_delay_alu instid0(VALU_DEP_3)
	v_lshl_or_b32 v11, v11, 9, 0x7c00
	s_or_b32 vcc_lo, s0, vcc_lo
	s_wait_alu 0xfffe
	v_add_co_ci_u32_e32 v14, vcc_lo, 0, v14, vcc_lo
	s_or_b32 vcc_lo, s2, s1
	s_wait_alu 0xfffe
	v_add_co_ci_u32_e32 v9, vcc_lo, 0, v9, vcc_lo
	v_cmp_gt_i32_e32 vcc_lo, 31, v13
	s_wait_alu 0xfffd
	v_cndmask_b32_e32 v14, 0x7c00, v14, vcc_lo
	v_cmp_gt_i32_e32 vcc_lo, 31, v15
	s_wait_alu 0xfffd
	v_cndmask_b32_e32 v9, 0x7c00, v9, vcc_lo
	v_cmp_eq_u32_e32 vcc_lo, 0x40f, v13
	s_wait_alu 0xfffd
	v_cndmask_b32_e32 v5, v14, v5, vcc_lo
	v_cmp_eq_u32_e32 vcc_lo, 0x40f, v15
	s_delay_alu instid0(VALU_DEP_2)
	v_and_or_b32 v5, 0x8000, v10, v5
	s_wait_alu 0xfffd
	v_cndmask_b32_e32 v9, v9, v11, vcc_lo
	v_add_co_u32 v7, vcc_lo, v7, s4
	s_wait_alu 0xfffd
	v_add_co_ci_u32_e32 v8, vcc_lo, s5, v8, vcc_lo
	s_delay_alu instid0(VALU_DEP_3) | instskip(SKIP_1) | instid1(VALU_DEP_1)
	v_and_or_b32 v9, 0x8000, v12, v9
	v_and_b32_e32 v5, 0xffff, v5
	v_lshl_or_b32 v5, v9, 16, v5
	global_store_b32 v[7:8], v5, off
	global_load_b32 v9, v47, s[12:13] offset:1820
	ds_load_2addr_b32 v[5:6], v6 offset0:71 offset1:162
	s_wait_dscnt 0x0
	v_lshrrev_b32_e32 v10, 16, v5
	s_wait_loadcnt 0x0
	v_lshrrev_b32_e32 v11, 16, v9
	s_delay_alu instid0(VALU_DEP_1) | instskip(SKIP_1) | instid1(VALU_DEP_2)
	v_mul_f16_e32 v12, v10, v11
	v_mul_f16_e32 v11, v5, v11
	v_fmac_f16_e32 v12, v5, v9
	s_delay_alu instid0(VALU_DEP_2) | instskip(NEXT) | instid1(VALU_DEP_2)
	v_fma_f16 v5, v9, v10, -v11
	v_cvt_f32_f16_e32 v9, v12
	s_delay_alu instid0(VALU_DEP_2) | instskip(NEXT) | instid1(VALU_DEP_2)
	v_cvt_f32_f16_e32 v5, v5
	v_cvt_f64_f32_e32 v[9:10], v9
	s_delay_alu instid0(VALU_DEP_2) | instskip(NEXT) | instid1(VALU_DEP_2)
	v_cvt_f64_f32_e32 v[11:12], v5
	v_mul_f64_e32 v[9:10], s[8:9], v[9:10]
	s_delay_alu instid0(VALU_DEP_2) | instskip(NEXT) | instid1(VALU_DEP_2)
	v_mul_f64_e32 v[11:12], s[8:9], v[11:12]
	v_and_or_b32 v5, 0x1ff, v10, v9
	s_delay_alu instid0(VALU_DEP_2)
	v_and_or_b32 v11, 0x1ff, v12, v11
	v_lshrrev_b32_e32 v9, 8, v10
	v_bfe_u32 v13, v10, 20, 11
	v_lshrrev_b32_e32 v14, 8, v12
	v_cmp_ne_u32_e32 vcc_lo, 0, v5
	v_bfe_u32 v15, v12, 20, 11
	v_lshrrev_b32_e32 v10, 16, v10
	v_sub_nc_u32_e32 v16, 0x3f1, v13
	v_add_nc_u32_e32 v13, 0xfffffc10, v13
	s_wait_alu 0xfffd
	v_cndmask_b32_e64 v5, 0, 1, vcc_lo
	v_cmp_ne_u32_e32 vcc_lo, 0, v11
	v_lshrrev_b32_e32 v12, 16, v12
	s_delay_alu instid0(VALU_DEP_3) | instskip(SKIP_4) | instid1(VALU_DEP_3)
	v_and_or_b32 v5, 0xffe, v9, v5
	s_wait_alu 0xfffd
	v_cndmask_b32_e64 v11, 0, 1, vcc_lo
	v_sub_nc_u32_e32 v9, 0x3f1, v15
	v_add_nc_u32_e32 v15, 0xfffffc10, v15
	v_and_or_b32 v11, 0xffe, v14, v11
	v_med3_i32 v14, v16, 0, 13
	v_or_b32_e32 v16, 0x1000, v5
	v_med3_i32 v9, v9, 0, 13
	s_delay_alu instid0(VALU_DEP_4) | instskip(NEXT) | instid1(VALU_DEP_3)
	v_or_b32_e32 v17, 0x1000, v11
	v_lshrrev_b32_e32 v18, v14, v16
	s_delay_alu instid0(VALU_DEP_2) | instskip(NEXT) | instid1(VALU_DEP_2)
	v_lshrrev_b32_e32 v19, v9, v17
	v_lshlrev_b32_e32 v14, v14, v18
	s_delay_alu instid0(VALU_DEP_2) | instskip(NEXT) | instid1(VALU_DEP_2)
	v_lshlrev_b32_e32 v9, v9, v19
	v_cmp_ne_u32_e32 vcc_lo, v14, v16
	v_lshl_or_b32 v16, v13, 12, v5
	s_wait_alu 0xfffd
	v_cndmask_b32_e64 v14, 0, 1, vcc_lo
	v_cmp_ne_u32_e32 vcc_lo, v9, v17
	v_lshl_or_b32 v17, v15, 12, v11
	s_delay_alu instid0(VALU_DEP_3) | instskip(SKIP_3) | instid1(VALU_DEP_2)
	v_or_b32_e32 v14, v18, v14
	s_wait_alu 0xfffd
	v_cndmask_b32_e64 v9, 0, 1, vcc_lo
	v_cmp_gt_i32_e32 vcc_lo, 1, v13
	v_or_b32_e32 v9, v19, v9
	s_wait_alu 0xfffd
	v_cndmask_b32_e32 v14, v16, v14, vcc_lo
	v_cmp_gt_i32_e32 vcc_lo, 1, v15
	s_wait_alu 0xfffd
	s_delay_alu instid0(VALU_DEP_2) | instskip(SKIP_2) | instid1(VALU_DEP_3)
	v_dual_cndmask_b32 v9, v17, v9 :: v_dual_and_b32 v16, 7, v14
	v_cmp_ne_u32_e32 vcc_lo, 0, v5
	v_lshrrev_b32_e32 v14, 2, v14
	v_cmp_eq_u32_e64 s0, 3, v16
	s_delay_alu instid0(VALU_DEP_4)
	v_and_b32_e32 v17, 7, v9
	s_wait_alu 0xfffd
	v_cndmask_b32_e64 v5, 0, 1, vcc_lo
	v_cmp_ne_u32_e32 vcc_lo, 0, v11
	v_lshrrev_b32_e32 v9, 2, v9
	v_cmp_lt_i32_e64 s1, 5, v17
	v_cmp_eq_u32_e64 s2, 3, v17
	s_wait_alu 0xfffd
	v_cndmask_b32_e64 v11, 0, 1, vcc_lo
	v_cmp_lt_i32_e32 vcc_lo, 5, v16
	v_lshl_or_b32 v5, v5, 9, 0x7c00
	s_delay_alu instid0(VALU_DEP_3)
	v_lshl_or_b32 v11, v11, 9, 0x7c00
	s_or_b32 vcc_lo, s0, vcc_lo
	s_wait_alu 0xfffe
	v_add_co_ci_u32_e32 v14, vcc_lo, 0, v14, vcc_lo
	s_or_b32 vcc_lo, s2, s1
	s_wait_alu 0xfffe
	v_add_co_ci_u32_e32 v9, vcc_lo, 0, v9, vcc_lo
	v_cmp_gt_i32_e32 vcc_lo, 31, v13
	s_wait_alu 0xfffd
	v_cndmask_b32_e32 v14, 0x7c00, v14, vcc_lo
	v_cmp_gt_i32_e32 vcc_lo, 31, v15
	s_wait_alu 0xfffd
	v_cndmask_b32_e32 v9, 0x7c00, v9, vcc_lo
	v_cmp_eq_u32_e32 vcc_lo, 0x40f, v13
	s_wait_alu 0xfffd
	v_cndmask_b32_e32 v5, v14, v5, vcc_lo
	v_cmp_eq_u32_e32 vcc_lo, 0x40f, v15
	s_delay_alu instid0(VALU_DEP_2)
	v_and_or_b32 v5, 0x8000, v10, v5
	s_wait_alu 0xfffd
	v_cndmask_b32_e32 v9, v9, v11, vcc_lo
	v_add_co_u32 v7, vcc_lo, v7, s4
	s_wait_alu 0xfffd
	v_add_co_ci_u32_e32 v8, vcc_lo, s5, v8, vcc_lo
	s_delay_alu instid0(VALU_DEP_3) | instskip(SKIP_1) | instid1(VALU_DEP_1)
	v_and_or_b32 v9, 0x8000, v12, v9
	v_and_b32_e32 v5, 0xffff, v5
	v_lshl_or_b32 v5, v9, 16, v5
	v_lshrrev_b32_e32 v9, 16, v6
	global_store_b32 v[7:8], v5, off
	global_load_b32 v5, v47, s[12:13] offset:2184
	s_wait_loadcnt 0x0
	v_lshrrev_b32_e32 v10, 16, v5
	s_delay_alu instid0(VALU_DEP_1) | instskip(SKIP_1) | instid1(VALU_DEP_2)
	v_mul_f16_e32 v11, v9, v10
	v_mul_f16_e32 v10, v6, v10
	v_fmac_f16_e32 v11, v6, v5
	s_delay_alu instid0(VALU_DEP_2) | instskip(NEXT) | instid1(VALU_DEP_2)
	v_fma_f16 v5, v5, v9, -v10
	v_cvt_f32_f16_e32 v6, v11
	s_delay_alu instid0(VALU_DEP_2) | instskip(NEXT) | instid1(VALU_DEP_2)
	v_cvt_f32_f16_e32 v9, v5
	v_cvt_f64_f32_e32 v[5:6], v6
	s_delay_alu instid0(VALU_DEP_2) | instskip(NEXT) | instid1(VALU_DEP_2)
	v_cvt_f64_f32_e32 v[9:10], v9
	v_mul_f64_e32 v[5:6], s[8:9], v[5:6]
	s_delay_alu instid0(VALU_DEP_2) | instskip(NEXT) | instid1(VALU_DEP_2)
	v_mul_f64_e32 v[9:10], s[8:9], v[9:10]
	v_and_or_b32 v5, 0x1ff, v6, v5
	s_delay_alu instid0(VALU_DEP_2)
	v_and_or_b32 v9, 0x1ff, v10, v9
	v_lshrrev_b32_e32 v11, 8, v6
	v_bfe_u32 v12, v6, 20, 11
	v_lshrrev_b32_e32 v13, 8, v10
	v_cmp_ne_u32_e32 vcc_lo, 0, v5
	v_bfe_u32 v14, v10, 20, 11
	v_lshrrev_b32_e32 v6, 16, v6
	v_sub_nc_u32_e32 v15, 0x3f1, v12
	v_add_nc_u32_e32 v12, 0xfffffc10, v12
	s_wait_alu 0xfffd
	v_cndmask_b32_e64 v5, 0, 1, vcc_lo
	v_cmp_ne_u32_e32 vcc_lo, 0, v9
	v_lshrrev_b32_e32 v10, 16, v10
	s_delay_alu instid0(VALU_DEP_3) | instskip(SKIP_4) | instid1(VALU_DEP_3)
	v_and_or_b32 v5, 0xffe, v11, v5
	s_wait_alu 0xfffd
	v_cndmask_b32_e64 v9, 0, 1, vcc_lo
	v_sub_nc_u32_e32 v11, 0x3f1, v14
	v_add_nc_u32_e32 v14, 0xfffffc10, v14
	v_and_or_b32 v9, 0xffe, v13, v9
	v_med3_i32 v13, v15, 0, 13
	v_or_b32_e32 v15, 0x1000, v5
	v_med3_i32 v11, v11, 0, 13
	s_delay_alu instid0(VALU_DEP_4) | instskip(NEXT) | instid1(VALU_DEP_3)
	v_or_b32_e32 v16, 0x1000, v9
	v_lshrrev_b32_e32 v17, v13, v15
	s_delay_alu instid0(VALU_DEP_2) | instskip(NEXT) | instid1(VALU_DEP_2)
	v_lshrrev_b32_e32 v18, v11, v16
	v_lshlrev_b32_e32 v13, v13, v17
	s_delay_alu instid0(VALU_DEP_2) | instskip(NEXT) | instid1(VALU_DEP_2)
	v_lshlrev_b32_e32 v11, v11, v18
	v_cmp_ne_u32_e32 vcc_lo, v13, v15
	v_lshl_or_b32 v15, v12, 12, v5
	s_wait_alu 0xfffd
	v_cndmask_b32_e64 v13, 0, 1, vcc_lo
	v_cmp_ne_u32_e32 vcc_lo, v11, v16
	v_lshl_or_b32 v16, v14, 12, v9
	s_delay_alu instid0(VALU_DEP_3) | instskip(SKIP_3) | instid1(VALU_DEP_2)
	v_or_b32_e32 v13, v17, v13
	s_wait_alu 0xfffd
	v_cndmask_b32_e64 v11, 0, 1, vcc_lo
	v_cmp_gt_i32_e32 vcc_lo, 1, v12
	v_or_b32_e32 v11, v18, v11
	s_wait_alu 0xfffd
	v_cndmask_b32_e32 v13, v15, v13, vcc_lo
	v_cmp_gt_i32_e32 vcc_lo, 1, v14
	s_delay_alu instid0(VALU_DEP_2)
	v_and_b32_e32 v15, 7, v13
	s_wait_alu 0xfffd
	v_cndmask_b32_e32 v11, v16, v11, vcc_lo
	v_cmp_ne_u32_e32 vcc_lo, 0, v5
	v_lshrrev_b32_e32 v13, 2, v13
	v_cmp_eq_u32_e64 s0, 3, v15
	s_delay_alu instid0(VALU_DEP_4)
	v_and_b32_e32 v16, 7, v11
	s_wait_alu 0xfffd
	v_cndmask_b32_e64 v5, 0, 1, vcc_lo
	v_cmp_ne_u32_e32 vcc_lo, 0, v9
	v_lshrrev_b32_e32 v11, 2, v11
	v_cmp_lt_i32_e64 s1, 5, v16
	v_cmp_eq_u32_e64 s2, 3, v16
	s_wait_alu 0xfffd
	v_cndmask_b32_e64 v9, 0, 1, vcc_lo
	v_cmp_lt_i32_e32 vcc_lo, 5, v15
	v_lshl_or_b32 v5, v5, 9, 0x7c00
	s_delay_alu instid0(VALU_DEP_3)
	v_lshl_or_b32 v9, v9, 9, 0x7c00
	s_or_b32 vcc_lo, s0, vcc_lo
	s_wait_alu 0xfffe
	v_add_co_ci_u32_e32 v13, vcc_lo, 0, v13, vcc_lo
	s_or_b32 vcc_lo, s2, s1
	s_wait_alu 0xfffe
	v_add_co_ci_u32_e32 v11, vcc_lo, 0, v11, vcc_lo
	v_cmp_gt_i32_e32 vcc_lo, 31, v12
	s_wait_alu 0xfffd
	v_cndmask_b32_e32 v13, 0x7c00, v13, vcc_lo
	v_cmp_gt_i32_e32 vcc_lo, 31, v14
	s_wait_alu 0xfffd
	v_cndmask_b32_e32 v11, 0x7c00, v11, vcc_lo
	v_cmp_eq_u32_e32 vcc_lo, 0x40f, v12
	s_wait_alu 0xfffd
	v_cndmask_b32_e32 v5, v13, v5, vcc_lo
	v_cmp_eq_u32_e32 vcc_lo, 0x40f, v14
	s_delay_alu instid0(VALU_DEP_2) | instskip(SKIP_2) | instid1(VALU_DEP_1)
	v_and_or_b32 v5, 0x8000, v6, v5
	s_wait_alu 0xfffd
	v_cndmask_b32_e32 v9, v11, v9, vcc_lo
	v_and_or_b32 v9, 0x8000, v10, v9
	s_delay_alu instid0(VALU_DEP_3) | instskip(SKIP_3) | instid1(VALU_DEP_3)
	v_and_b32_e32 v10, 0xffff, v5
	v_add_co_u32 v5, vcc_lo, v7, s4
	s_wait_alu 0xfffd
	v_add_co_ci_u32_e32 v6, vcc_lo, s5, v8, vcc_lo
	v_lshl_or_b32 v7, v9, 16, v10
	global_store_b32 v[5:6], v7, off
	global_load_b32 v9, v47, s[12:13] offset:2548
	ds_load_2addr_b32 v[7:8], v3 offset0:125 offset1:216
	s_wait_dscnt 0x0
	v_lshrrev_b32_e32 v3, 16, v7
	s_wait_loadcnt 0x0
	v_lshrrev_b32_e32 v10, 16, v9
	s_delay_alu instid0(VALU_DEP_1) | instskip(SKIP_1) | instid1(VALU_DEP_2)
	v_mul_f16_e32 v11, v3, v10
	v_mul_f16_e32 v10, v7, v10
	v_fmac_f16_e32 v11, v7, v9
	s_delay_alu instid0(VALU_DEP_2) | instskip(NEXT) | instid1(VALU_DEP_2)
	v_fma_f16 v3, v9, v3, -v10
	v_cvt_f32_f16_e32 v7, v11
	s_delay_alu instid0(VALU_DEP_2) | instskip(NEXT) | instid1(VALU_DEP_2)
	v_cvt_f32_f16_e32 v3, v3
	v_cvt_f64_f32_e32 v[9:10], v7
	s_delay_alu instid0(VALU_DEP_2) | instskip(NEXT) | instid1(VALU_DEP_2)
	v_cvt_f64_f32_e32 v[11:12], v3
	v_mul_f64_e32 v[9:10], s[8:9], v[9:10]
	s_delay_alu instid0(VALU_DEP_2) | instskip(NEXT) | instid1(VALU_DEP_2)
	v_mul_f64_e32 v[11:12], s[8:9], v[11:12]
	v_and_or_b32 v3, 0x1ff, v10, v9
	s_delay_alu instid0(VALU_DEP_2)
	v_and_or_b32 v11, 0x1ff, v12, v11
	v_lshrrev_b32_e32 v7, 8, v10
	v_bfe_u32 v9, v10, 20, 11
	v_lshrrev_b32_e32 v13, 8, v12
	v_cmp_ne_u32_e32 vcc_lo, 0, v3
	v_bfe_u32 v14, v12, 20, 11
	v_lshrrev_b32_e32 v10, 16, v10
	v_sub_nc_u32_e32 v15, 0x3f1, v9
	v_add_nc_u32_e32 v9, 0xfffffc10, v9
	s_wait_alu 0xfffd
	v_cndmask_b32_e64 v3, 0, 1, vcc_lo
	v_cmp_ne_u32_e32 vcc_lo, 0, v11
	s_delay_alu instid0(VALU_DEP_2) | instskip(SKIP_4) | instid1(VALU_DEP_3)
	v_and_or_b32 v3, 0xffe, v7, v3
	s_wait_alu 0xfffd
	v_cndmask_b32_e64 v11, 0, 1, vcc_lo
	v_sub_nc_u32_e32 v7, 0x3f1, v14
	v_add_nc_u32_e32 v14, 0xfffffc10, v14
	v_and_or_b32 v11, 0xffe, v13, v11
	v_med3_i32 v13, v15, 0, 13
	v_or_b32_e32 v15, 0x1000, v3
	v_med3_i32 v7, v7, 0, 13
	s_delay_alu instid0(VALU_DEP_4) | instskip(NEXT) | instid1(VALU_DEP_3)
	v_or_b32_e32 v16, 0x1000, v11
	v_lshrrev_b32_e32 v17, v13, v15
	s_delay_alu instid0(VALU_DEP_2) | instskip(NEXT) | instid1(VALU_DEP_2)
	v_lshrrev_b32_e32 v18, v7, v16
	v_lshlrev_b32_e32 v13, v13, v17
	s_delay_alu instid0(VALU_DEP_2) | instskip(NEXT) | instid1(VALU_DEP_2)
	v_lshlrev_b32_e32 v7, v7, v18
	v_cmp_ne_u32_e32 vcc_lo, v13, v15
	v_lshl_or_b32 v15, v9, 12, v3
	s_wait_alu 0xfffd
	v_cndmask_b32_e64 v13, 0, 1, vcc_lo
	v_cmp_ne_u32_e32 vcc_lo, v7, v16
	v_lshl_or_b32 v16, v14, 12, v11
	s_delay_alu instid0(VALU_DEP_3) | instskip(SKIP_3) | instid1(VALU_DEP_2)
	v_or_b32_e32 v13, v17, v13
	s_wait_alu 0xfffd
	v_cndmask_b32_e64 v7, 0, 1, vcc_lo
	v_cmp_gt_i32_e32 vcc_lo, 1, v9
	v_or_b32_e32 v7, v18, v7
	s_wait_alu 0xfffd
	v_cndmask_b32_e32 v13, v15, v13, vcc_lo
	v_cmp_gt_i32_e32 vcc_lo, 1, v14
	s_delay_alu instid0(VALU_DEP_2)
	v_and_b32_e32 v15, 7, v13
	s_wait_alu 0xfffd
	v_cndmask_b32_e32 v7, v16, v7, vcc_lo
	v_cmp_ne_u32_e32 vcc_lo, 0, v3
	v_lshrrev_b32_e32 v13, 2, v13
	v_cmp_eq_u32_e64 s0, 3, v15
	s_delay_alu instid0(VALU_DEP_4)
	v_and_b32_e32 v16, 7, v7
	s_wait_alu 0xfffd
	v_cndmask_b32_e64 v3, 0, 1, vcc_lo
	v_cmp_ne_u32_e32 vcc_lo, 0, v11
	v_lshrrev_b32_e32 v7, 2, v7
	v_cmp_lt_i32_e64 s1, 5, v16
	v_cmp_eq_u32_e64 s2, 3, v16
	s_wait_alu 0xfffd
	v_cndmask_b32_e64 v11, 0, 1, vcc_lo
	v_cmp_lt_i32_e32 vcc_lo, 5, v15
	v_lshl_or_b32 v3, v3, 9, 0x7c00
	s_delay_alu instid0(VALU_DEP_3)
	v_lshl_or_b32 v11, v11, 9, 0x7c00
	s_or_b32 vcc_lo, s0, vcc_lo
	s_wait_alu 0xfffe
	v_add_co_ci_u32_e32 v13, vcc_lo, 0, v13, vcc_lo
	s_or_b32 vcc_lo, s2, s1
	s_wait_alu 0xfffe
	v_add_co_ci_u32_e32 v7, vcc_lo, 0, v7, vcc_lo
	v_cmp_gt_i32_e32 vcc_lo, 31, v9
	s_wait_alu 0xfffd
	v_cndmask_b32_e32 v13, 0x7c00, v13, vcc_lo
	v_cmp_gt_i32_e32 vcc_lo, 31, v14
	s_wait_alu 0xfffd
	v_cndmask_b32_e32 v7, 0x7c00, v7, vcc_lo
	v_cmp_eq_u32_e32 vcc_lo, 0x40f, v9
	v_lshrrev_b32_e32 v9, 16, v12
	s_wait_alu 0xfffd
	v_cndmask_b32_e32 v3, v13, v3, vcc_lo
	v_cmp_eq_u32_e32 vcc_lo, 0x40f, v14
	s_delay_alu instid0(VALU_DEP_2)
	v_and_or_b32 v3, 0x8000, v10, v3
	s_wait_alu 0xfffd
	v_cndmask_b32_e32 v7, v7, v11, vcc_lo
	v_add_co_u32 v5, vcc_lo, v5, s4
	s_wait_alu 0xfffd
	v_add_co_ci_u32_e32 v6, vcc_lo, s5, v6, vcc_lo
	s_delay_alu instid0(VALU_DEP_3) | instskip(SKIP_1) | instid1(VALU_DEP_1)
	v_and_or_b32 v7, 0x8000, v9, v7
	v_and_b32_e32 v3, 0xffff, v3
	v_lshl_or_b32 v3, v7, 16, v3
	v_lshrrev_b32_e32 v7, 16, v8
	global_store_b32 v[5:6], v3, off
	global_load_b32 v3, v47, s[12:13] offset:2912
	s_wait_loadcnt 0x0
	v_lshrrev_b32_e32 v9, 16, v3
	s_delay_alu instid0(VALU_DEP_1) | instskip(SKIP_1) | instid1(VALU_DEP_2)
	v_mul_f16_e32 v10, v7, v9
	v_mul_f16_e32 v9, v8, v9
	v_fmac_f16_e32 v10, v8, v3
	s_delay_alu instid0(VALU_DEP_2) | instskip(NEXT) | instid1(VALU_DEP_2)
	v_fma_f16 v3, v3, v7, -v9
	v_cvt_f32_f16_e32 v7, v10
	s_delay_alu instid0(VALU_DEP_2) | instskip(NEXT) | instid1(VALU_DEP_2)
	v_cvt_f32_f16_e32 v3, v3
	v_cvt_f64_f32_e32 v[7:8], v7
	s_delay_alu instid0(VALU_DEP_2) | instskip(NEXT) | instid1(VALU_DEP_2)
	v_cvt_f64_f32_e32 v[9:10], v3
	v_mul_f64_e32 v[7:8], s[8:9], v[7:8]
	s_delay_alu instid0(VALU_DEP_2) | instskip(NEXT) | instid1(VALU_DEP_2)
	v_mul_f64_e32 v[9:10], s[8:9], v[9:10]
	v_and_or_b32 v3, 0x1ff, v8, v7
	s_delay_alu instid0(VALU_DEP_2)
	v_and_or_b32 v9, 0x1ff, v10, v9
	v_lshrrev_b32_e32 v7, 8, v8
	v_bfe_u32 v11, v8, 20, 11
	v_lshrrev_b32_e32 v12, 8, v10
	v_cmp_ne_u32_e32 vcc_lo, 0, v3
	v_bfe_u32 v13, v10, 20, 11
	v_lshrrev_b32_e32 v8, 16, v8
	v_sub_nc_u32_e32 v14, 0x3f1, v11
	v_add_nc_u32_e32 v11, 0xfffffc10, v11
	s_wait_alu 0xfffd
	v_cndmask_b32_e64 v3, 0, 1, vcc_lo
	v_cmp_ne_u32_e32 vcc_lo, 0, v9
	v_lshrrev_b32_e32 v10, 16, v10
	s_delay_alu instid0(VALU_DEP_3) | instskip(SKIP_4) | instid1(VALU_DEP_3)
	v_and_or_b32 v3, 0xffe, v7, v3
	s_wait_alu 0xfffd
	v_cndmask_b32_e64 v9, 0, 1, vcc_lo
	v_sub_nc_u32_e32 v7, 0x3f1, v13
	v_add_nc_u32_e32 v13, 0xfffffc10, v13
	v_and_or_b32 v9, 0xffe, v12, v9
	v_med3_i32 v12, v14, 0, 13
	v_or_b32_e32 v14, 0x1000, v3
	v_med3_i32 v7, v7, 0, 13
	s_delay_alu instid0(VALU_DEP_4) | instskip(NEXT) | instid1(VALU_DEP_3)
	v_or_b32_e32 v15, 0x1000, v9
	v_lshrrev_b32_e32 v16, v12, v14
	s_delay_alu instid0(VALU_DEP_2) | instskip(NEXT) | instid1(VALU_DEP_2)
	v_lshrrev_b32_e32 v17, v7, v15
	v_lshlrev_b32_e32 v12, v12, v16
	s_delay_alu instid0(VALU_DEP_2) | instskip(NEXT) | instid1(VALU_DEP_2)
	v_lshlrev_b32_e32 v7, v7, v17
	v_cmp_ne_u32_e32 vcc_lo, v12, v14
	v_lshl_or_b32 v14, v11, 12, v3
	s_wait_alu 0xfffd
	v_cndmask_b32_e64 v12, 0, 1, vcc_lo
	v_cmp_ne_u32_e32 vcc_lo, v7, v15
	v_lshl_or_b32 v15, v13, 12, v9
	s_delay_alu instid0(VALU_DEP_3) | instskip(SKIP_3) | instid1(VALU_DEP_2)
	v_or_b32_e32 v12, v16, v12
	s_wait_alu 0xfffd
	v_cndmask_b32_e64 v7, 0, 1, vcc_lo
	v_cmp_gt_i32_e32 vcc_lo, 1, v11
	v_or_b32_e32 v7, v17, v7
	s_wait_alu 0xfffd
	v_cndmask_b32_e32 v12, v14, v12, vcc_lo
	v_cmp_gt_i32_e32 vcc_lo, 1, v13
	s_wait_alu 0xfffd
	s_delay_alu instid0(VALU_DEP_2) | instskip(SKIP_2) | instid1(VALU_DEP_3)
	v_dual_cndmask_b32 v7, v15, v7 :: v_dual_and_b32 v14, 7, v12
	v_cmp_ne_u32_e32 vcc_lo, 0, v3
	v_lshrrev_b32_e32 v12, 2, v12
	v_cmp_eq_u32_e64 s0, 3, v14
	s_delay_alu instid0(VALU_DEP_4)
	v_and_b32_e32 v15, 7, v7
	s_wait_alu 0xfffd
	v_cndmask_b32_e64 v3, 0, 1, vcc_lo
	v_cmp_ne_u32_e32 vcc_lo, 0, v9
	v_lshrrev_b32_e32 v7, 2, v7
	v_cmp_lt_i32_e64 s1, 5, v15
	v_cmp_eq_u32_e64 s2, 3, v15
	s_wait_alu 0xfffd
	v_cndmask_b32_e64 v9, 0, 1, vcc_lo
	v_cmp_lt_i32_e32 vcc_lo, 5, v14
	v_lshl_or_b32 v3, v3, 9, 0x7c00
	s_delay_alu instid0(VALU_DEP_3)
	v_lshl_or_b32 v9, v9, 9, 0x7c00
	s_or_b32 vcc_lo, s0, vcc_lo
	s_wait_alu 0xfffe
	v_add_co_ci_u32_e32 v12, vcc_lo, 0, v12, vcc_lo
	s_or_b32 vcc_lo, s2, s1
	s_wait_alu 0xfffe
	v_add_co_ci_u32_e32 v7, vcc_lo, 0, v7, vcc_lo
	v_cmp_gt_i32_e32 vcc_lo, 31, v11
	s_wait_alu 0xfffd
	v_cndmask_b32_e32 v12, 0x7c00, v12, vcc_lo
	v_cmp_gt_i32_e32 vcc_lo, 31, v13
	s_wait_alu 0xfffd
	v_cndmask_b32_e32 v7, 0x7c00, v7, vcc_lo
	v_cmp_eq_u32_e32 vcc_lo, 0x40f, v11
	s_wait_alu 0xfffd
	v_cndmask_b32_e32 v3, v12, v3, vcc_lo
	v_cmp_eq_u32_e32 vcc_lo, 0x40f, v13
	s_delay_alu instid0(VALU_DEP_2)
	v_and_or_b32 v3, 0x8000, v8, v3
	s_wait_alu 0xfffd
	v_cndmask_b32_e32 v7, v7, v9, vcc_lo
	v_add_co_u32 v5, vcc_lo, v5, s4
	s_wait_alu 0xfffd
	v_add_co_ci_u32_e32 v6, vcc_lo, s5, v6, vcc_lo
	s_delay_alu instid0(VALU_DEP_3) | instskip(SKIP_1) | instid1(VALU_DEP_1)
	v_and_or_b32 v7, 0x8000, v10, v7
	v_and_b32_e32 v3, 0xffff, v3
	v_lshl_or_b32 v3, v7, 16, v3
	global_store_b32 v[5:6], v3, off
	global_load_b32 v7, v47, s[12:13] offset:3276
	ds_load_2addr_b32 v[2:3], v2 offset0:51 offset1:142
	s_wait_dscnt 0x0
	v_lshrrev_b32_e32 v8, 16, v2
	s_wait_loadcnt 0x0
	v_lshrrev_b32_e32 v9, 16, v7
	s_delay_alu instid0(VALU_DEP_1) | instskip(SKIP_1) | instid1(VALU_DEP_2)
	v_mul_f16_e32 v10, v8, v9
	v_mul_f16_e32 v9, v2, v9
	v_fmac_f16_e32 v10, v2, v7
	s_delay_alu instid0(VALU_DEP_2) | instskip(NEXT) | instid1(VALU_DEP_2)
	v_fma_f16 v2, v7, v8, -v9
	v_cvt_f32_f16_e32 v7, v10
	s_delay_alu instid0(VALU_DEP_2) | instskip(NEXT) | instid1(VALU_DEP_2)
	v_cvt_f32_f16_e32 v2, v2
	v_cvt_f64_f32_e32 v[7:8], v7
	s_delay_alu instid0(VALU_DEP_2) | instskip(NEXT) | instid1(VALU_DEP_2)
	v_cvt_f64_f32_e32 v[9:10], v2
	v_mul_f64_e32 v[7:8], s[8:9], v[7:8]
	s_delay_alu instid0(VALU_DEP_2) | instskip(NEXT) | instid1(VALU_DEP_2)
	v_mul_f64_e32 v[9:10], s[8:9], v[9:10]
	v_and_or_b32 v2, 0x1ff, v8, v7
	s_delay_alu instid0(VALU_DEP_2)
	v_and_or_b32 v9, 0x1ff, v10, v9
	v_lshrrev_b32_e32 v7, 8, v8
	v_bfe_u32 v11, v8, 20, 11
	v_lshrrev_b32_e32 v12, 8, v10
	v_cmp_ne_u32_e32 vcc_lo, 0, v2
	v_bfe_u32 v13, v10, 20, 11
	v_lshrrev_b32_e32 v8, 16, v8
	v_sub_nc_u32_e32 v14, 0x3f1, v11
	v_add_nc_u32_e32 v11, 0xfffffc10, v11
	s_wait_alu 0xfffd
	v_cndmask_b32_e64 v2, 0, 1, vcc_lo
	v_cmp_ne_u32_e32 vcc_lo, 0, v9
	v_lshrrev_b32_e32 v10, 16, v10
	s_delay_alu instid0(VALU_DEP_3) | instskip(SKIP_4) | instid1(VALU_DEP_3)
	v_and_or_b32 v2, 0xffe, v7, v2
	s_wait_alu 0xfffd
	v_cndmask_b32_e64 v9, 0, 1, vcc_lo
	v_sub_nc_u32_e32 v7, 0x3f1, v13
	v_add_nc_u32_e32 v13, 0xfffffc10, v13
	v_and_or_b32 v9, 0xffe, v12, v9
	v_med3_i32 v12, v14, 0, 13
	v_or_b32_e32 v14, 0x1000, v2
	v_med3_i32 v7, v7, 0, 13
	s_delay_alu instid0(VALU_DEP_4) | instskip(NEXT) | instid1(VALU_DEP_3)
	v_or_b32_e32 v15, 0x1000, v9
	v_lshrrev_b32_e32 v16, v12, v14
	s_delay_alu instid0(VALU_DEP_2) | instskip(NEXT) | instid1(VALU_DEP_2)
	v_lshrrev_b32_e32 v17, v7, v15
	v_lshlrev_b32_e32 v12, v12, v16
	s_delay_alu instid0(VALU_DEP_2) | instskip(NEXT) | instid1(VALU_DEP_2)
	v_lshlrev_b32_e32 v7, v7, v17
	v_cmp_ne_u32_e32 vcc_lo, v12, v14
	v_lshl_or_b32 v14, v11, 12, v2
	s_wait_alu 0xfffd
	v_cndmask_b32_e64 v12, 0, 1, vcc_lo
	v_cmp_ne_u32_e32 vcc_lo, v7, v15
	v_lshl_or_b32 v15, v13, 12, v9
	s_delay_alu instid0(VALU_DEP_3) | instskip(SKIP_3) | instid1(VALU_DEP_2)
	v_or_b32_e32 v12, v16, v12
	s_wait_alu 0xfffd
	v_cndmask_b32_e64 v7, 0, 1, vcc_lo
	v_cmp_gt_i32_e32 vcc_lo, 1, v11
	v_or_b32_e32 v7, v17, v7
	s_wait_alu 0xfffd
	v_cndmask_b32_e32 v12, v14, v12, vcc_lo
	v_cmp_gt_i32_e32 vcc_lo, 1, v13
	s_wait_alu 0xfffd
	s_delay_alu instid0(VALU_DEP_2) | instskip(SKIP_2) | instid1(VALU_DEP_3)
	v_dual_cndmask_b32 v7, v15, v7 :: v_dual_and_b32 v14, 7, v12
	v_cmp_ne_u32_e32 vcc_lo, 0, v2
	v_lshrrev_b32_e32 v12, 2, v12
	v_cmp_eq_u32_e64 s0, 3, v14
	s_delay_alu instid0(VALU_DEP_4)
	v_and_b32_e32 v15, 7, v7
	s_wait_alu 0xfffd
	v_cndmask_b32_e64 v2, 0, 1, vcc_lo
	v_cmp_ne_u32_e32 vcc_lo, 0, v9
	v_lshrrev_b32_e32 v7, 2, v7
	v_cmp_lt_i32_e64 s1, 5, v15
	v_cmp_eq_u32_e64 s2, 3, v15
	s_wait_alu 0xfffd
	v_cndmask_b32_e64 v9, 0, 1, vcc_lo
	v_cmp_lt_i32_e32 vcc_lo, 5, v14
	v_lshl_or_b32 v2, v2, 9, 0x7c00
	s_delay_alu instid0(VALU_DEP_3)
	v_lshl_or_b32 v9, v9, 9, 0x7c00
	s_or_b32 vcc_lo, s0, vcc_lo
	s_wait_alu 0xfffe
	v_add_co_ci_u32_e32 v12, vcc_lo, 0, v12, vcc_lo
	s_or_b32 vcc_lo, s2, s1
	s_wait_alu 0xfffe
	v_add_co_ci_u32_e32 v7, vcc_lo, 0, v7, vcc_lo
	v_cmp_gt_i32_e32 vcc_lo, 31, v11
	s_wait_alu 0xfffd
	v_cndmask_b32_e32 v12, 0x7c00, v12, vcc_lo
	v_cmp_gt_i32_e32 vcc_lo, 31, v13
	s_wait_alu 0xfffd
	v_cndmask_b32_e32 v7, 0x7c00, v7, vcc_lo
	v_cmp_eq_u32_e32 vcc_lo, 0x40f, v11
	s_wait_alu 0xfffd
	v_cndmask_b32_e32 v2, v12, v2, vcc_lo
	v_cmp_eq_u32_e32 vcc_lo, 0x40f, v13
	s_delay_alu instid0(VALU_DEP_2)
	v_and_or_b32 v2, 0x8000, v8, v2
	s_wait_alu 0xfffd
	v_cndmask_b32_e32 v7, v7, v9, vcc_lo
	v_add_co_u32 v5, vcc_lo, v5, s4
	s_wait_alu 0xfffd
	v_add_co_ci_u32_e32 v6, vcc_lo, s5, v6, vcc_lo
	s_delay_alu instid0(VALU_DEP_3) | instskip(SKIP_1) | instid1(VALU_DEP_1)
	v_and_or_b32 v7, 0x8000, v10, v7
	v_and_b32_e32 v2, 0xffff, v2
	v_lshl_or_b32 v2, v7, 16, v2
	v_lshrrev_b32_e32 v7, 16, v3
	global_store_b32 v[5:6], v2, off
	global_load_b32 v2, v47, s[12:13] offset:3640
	s_wait_loadcnt 0x0
	v_lshrrev_b32_e32 v8, 16, v2
	s_delay_alu instid0(VALU_DEP_1) | instskip(SKIP_1) | instid1(VALU_DEP_2)
	v_mul_f16_e32 v9, v7, v8
	v_mul_f16_e32 v8, v3, v8
	v_fmac_f16_e32 v9, v3, v2
	s_delay_alu instid0(VALU_DEP_2) | instskip(NEXT) | instid1(VALU_DEP_2)
	v_fma_f16 v2, v2, v7, -v8
	v_cvt_f32_f16_e32 v3, v9
	s_delay_alu instid0(VALU_DEP_2) | instskip(NEXT) | instid1(VALU_DEP_2)
	v_cvt_f32_f16_e32 v7, v2
	v_cvt_f64_f32_e32 v[2:3], v3
	s_delay_alu instid0(VALU_DEP_2) | instskip(NEXT) | instid1(VALU_DEP_2)
	v_cvt_f64_f32_e32 v[7:8], v7
	v_mul_f64_e32 v[2:3], s[8:9], v[2:3]
	s_delay_alu instid0(VALU_DEP_2) | instskip(NEXT) | instid1(VALU_DEP_2)
	v_mul_f64_e32 v[7:8], s[8:9], v[7:8]
	v_and_or_b32 v2, 0x1ff, v3, v2
	s_delay_alu instid0(VALU_DEP_2)
	v_and_or_b32 v7, 0x1ff, v8, v7
	v_lshrrev_b32_e32 v9, 8, v3
	v_bfe_u32 v10, v3, 20, 11
	v_lshrrev_b32_e32 v11, 8, v8
	v_cmp_ne_u32_e32 vcc_lo, 0, v2
	v_bfe_u32 v12, v8, 20, 11
	v_lshrrev_b32_e32 v3, 16, v3
	v_sub_nc_u32_e32 v13, 0x3f1, v10
	v_add_nc_u32_e32 v10, 0xfffffc10, v10
	s_wait_alu 0xfffd
	v_cndmask_b32_e64 v2, 0, 1, vcc_lo
	v_cmp_ne_u32_e32 vcc_lo, 0, v7
	v_lshrrev_b32_e32 v8, 16, v8
	s_delay_alu instid0(VALU_DEP_3) | instskip(SKIP_4) | instid1(VALU_DEP_3)
	v_and_or_b32 v2, 0xffe, v9, v2
	s_wait_alu 0xfffd
	v_cndmask_b32_e64 v7, 0, 1, vcc_lo
	v_sub_nc_u32_e32 v9, 0x3f1, v12
	v_add_nc_u32_e32 v12, 0xfffffc10, v12
	v_and_or_b32 v7, 0xffe, v11, v7
	v_med3_i32 v11, v13, 0, 13
	v_or_b32_e32 v13, 0x1000, v2
	v_med3_i32 v9, v9, 0, 13
	s_delay_alu instid0(VALU_DEP_4) | instskip(NEXT) | instid1(VALU_DEP_3)
	v_or_b32_e32 v14, 0x1000, v7
	v_lshrrev_b32_e32 v15, v11, v13
	s_delay_alu instid0(VALU_DEP_2) | instskip(NEXT) | instid1(VALU_DEP_2)
	v_lshrrev_b32_e32 v16, v9, v14
	v_lshlrev_b32_e32 v11, v11, v15
	s_delay_alu instid0(VALU_DEP_2) | instskip(NEXT) | instid1(VALU_DEP_2)
	v_lshlrev_b32_e32 v9, v9, v16
	v_cmp_ne_u32_e32 vcc_lo, v11, v13
	v_lshl_or_b32 v13, v10, 12, v2
	s_wait_alu 0xfffd
	v_cndmask_b32_e64 v11, 0, 1, vcc_lo
	v_cmp_ne_u32_e32 vcc_lo, v9, v14
	v_lshl_or_b32 v14, v12, 12, v7
	s_delay_alu instid0(VALU_DEP_3) | instskip(SKIP_3) | instid1(VALU_DEP_2)
	v_or_b32_e32 v11, v15, v11
	s_wait_alu 0xfffd
	v_cndmask_b32_e64 v9, 0, 1, vcc_lo
	v_cmp_gt_i32_e32 vcc_lo, 1, v10
	v_or_b32_e32 v9, v16, v9
	s_wait_alu 0xfffd
	v_cndmask_b32_e32 v11, v13, v11, vcc_lo
	v_cmp_gt_i32_e32 vcc_lo, 1, v12
	s_delay_alu instid0(VALU_DEP_2)
	v_and_b32_e32 v13, 7, v11
	s_wait_alu 0xfffd
	v_cndmask_b32_e32 v9, v14, v9, vcc_lo
	v_cmp_ne_u32_e32 vcc_lo, 0, v2
	v_lshrrev_b32_e32 v11, 2, v11
	v_cmp_eq_u32_e64 s0, 3, v13
	s_delay_alu instid0(VALU_DEP_4)
	v_and_b32_e32 v14, 7, v9
	s_wait_alu 0xfffd
	v_cndmask_b32_e64 v2, 0, 1, vcc_lo
	v_cmp_ne_u32_e32 vcc_lo, 0, v7
	v_lshrrev_b32_e32 v9, 2, v9
	v_cmp_lt_i32_e64 s1, 5, v14
	v_cmp_eq_u32_e64 s2, 3, v14
	s_wait_alu 0xfffd
	v_cndmask_b32_e64 v7, 0, 1, vcc_lo
	v_cmp_lt_i32_e32 vcc_lo, 5, v13
	v_lshl_or_b32 v2, v2, 9, 0x7c00
	s_delay_alu instid0(VALU_DEP_3)
	v_lshl_or_b32 v7, v7, 9, 0x7c00
	s_or_b32 vcc_lo, s0, vcc_lo
	s_wait_alu 0xfffe
	v_add_co_ci_u32_e32 v11, vcc_lo, 0, v11, vcc_lo
	s_or_b32 vcc_lo, s2, s1
	s_wait_alu 0xfffe
	v_add_co_ci_u32_e32 v9, vcc_lo, 0, v9, vcc_lo
	v_cmp_gt_i32_e32 vcc_lo, 31, v10
	s_wait_alu 0xfffd
	v_cndmask_b32_e32 v11, 0x7c00, v11, vcc_lo
	v_cmp_gt_i32_e32 vcc_lo, 31, v12
	s_wait_alu 0xfffd
	v_cndmask_b32_e32 v9, 0x7c00, v9, vcc_lo
	v_cmp_eq_u32_e32 vcc_lo, 0x40f, v10
	s_wait_alu 0xfffd
	v_cndmask_b32_e32 v2, v11, v2, vcc_lo
	v_cmp_eq_u32_e32 vcc_lo, 0x40f, v12
	s_delay_alu instid0(VALU_DEP_2) | instskip(SKIP_2) | instid1(VALU_DEP_1)
	v_and_or_b32 v2, 0x8000, v3, v2
	s_wait_alu 0xfffd
	v_cndmask_b32_e32 v7, v9, v7, vcc_lo
	v_and_or_b32 v7, 0x8000, v8, v7
	s_delay_alu instid0(VALU_DEP_3) | instskip(SKIP_3) | instid1(VALU_DEP_3)
	v_and_b32_e32 v8, 0xffff, v2
	v_add_co_u32 v2, vcc_lo, v5, s4
	s_wait_alu 0xfffd
	v_add_co_ci_u32_e32 v3, vcc_lo, s5, v6, vcc_lo
	v_lshl_or_b32 v5, v7, 16, v8
	global_store_b32 v[2:3], v5, off
	global_load_b32 v6, v47, s[12:13] offset:4004
	ds_load_2addr_b32 v[4:5], v4 offset0:105 offset1:196
	s_wait_dscnt 0x0
	v_lshrrev_b32_e32 v7, 16, v4
	s_wait_loadcnt 0x0
	v_lshrrev_b32_e32 v8, 16, v6
	s_delay_alu instid0(VALU_DEP_1) | instskip(SKIP_1) | instid1(VALU_DEP_2)
	v_mul_f16_e32 v9, v7, v8
	v_mul_f16_e32 v8, v4, v8
	v_fmac_f16_e32 v9, v4, v6
	s_delay_alu instid0(VALU_DEP_2) | instskip(NEXT) | instid1(VALU_DEP_2)
	v_fma_f16 v4, v6, v7, -v8
	v_cvt_f32_f16_e32 v6, v9
	s_delay_alu instid0(VALU_DEP_2) | instskip(NEXT) | instid1(VALU_DEP_2)
	v_cvt_f32_f16_e32 v4, v4
	v_cvt_f64_f32_e32 v[6:7], v6
	s_delay_alu instid0(VALU_DEP_2) | instskip(NEXT) | instid1(VALU_DEP_2)
	v_cvt_f64_f32_e32 v[8:9], v4
	v_mul_f64_e32 v[6:7], s[8:9], v[6:7]
	s_delay_alu instid0(VALU_DEP_2) | instskip(NEXT) | instid1(VALU_DEP_2)
	v_mul_f64_e32 v[8:9], s[8:9], v[8:9]
	v_and_or_b32 v4, 0x1ff, v7, v6
	s_delay_alu instid0(VALU_DEP_2)
	v_and_or_b32 v8, 0x1ff, v9, v8
	v_lshrrev_b32_e32 v6, 8, v7
	v_bfe_u32 v10, v7, 20, 11
	v_lshrrev_b32_e32 v11, 8, v9
	v_cmp_ne_u32_e32 vcc_lo, 0, v4
	v_bfe_u32 v12, v9, 20, 11
	v_lshrrev_b32_e32 v7, 16, v7
	v_sub_nc_u32_e32 v13, 0x3f1, v10
	v_add_nc_u32_e32 v10, 0xfffffc10, v10
	s_wait_alu 0xfffd
	v_cndmask_b32_e64 v4, 0, 1, vcc_lo
	v_cmp_ne_u32_e32 vcc_lo, 0, v8
	v_lshrrev_b32_e32 v9, 16, v9
	s_delay_alu instid0(VALU_DEP_3) | instskip(SKIP_4) | instid1(VALU_DEP_3)
	v_and_or_b32 v4, 0xffe, v6, v4
	s_wait_alu 0xfffd
	v_cndmask_b32_e64 v8, 0, 1, vcc_lo
	v_sub_nc_u32_e32 v6, 0x3f1, v12
	v_add_nc_u32_e32 v12, 0xfffffc10, v12
	v_and_or_b32 v8, 0xffe, v11, v8
	v_med3_i32 v11, v13, 0, 13
	v_or_b32_e32 v13, 0x1000, v4
	v_med3_i32 v6, v6, 0, 13
	s_delay_alu instid0(VALU_DEP_4) | instskip(NEXT) | instid1(VALU_DEP_3)
	v_or_b32_e32 v14, 0x1000, v8
	v_lshrrev_b32_e32 v15, v11, v13
	s_delay_alu instid0(VALU_DEP_2) | instskip(NEXT) | instid1(VALU_DEP_2)
	v_lshrrev_b32_e32 v16, v6, v14
	v_lshlrev_b32_e32 v11, v11, v15
	s_delay_alu instid0(VALU_DEP_2) | instskip(NEXT) | instid1(VALU_DEP_2)
	v_lshlrev_b32_e32 v6, v6, v16
	v_cmp_ne_u32_e32 vcc_lo, v11, v13
	v_lshl_or_b32 v13, v10, 12, v4
	s_wait_alu 0xfffd
	v_cndmask_b32_e64 v11, 0, 1, vcc_lo
	v_cmp_ne_u32_e32 vcc_lo, v6, v14
	v_lshl_or_b32 v14, v12, 12, v8
	s_delay_alu instid0(VALU_DEP_3) | instskip(SKIP_3) | instid1(VALU_DEP_2)
	v_or_b32_e32 v11, v15, v11
	s_wait_alu 0xfffd
	v_cndmask_b32_e64 v6, 0, 1, vcc_lo
	v_cmp_gt_i32_e32 vcc_lo, 1, v10
	v_or_b32_e32 v6, v16, v6
	s_wait_alu 0xfffd
	v_cndmask_b32_e32 v11, v13, v11, vcc_lo
	v_cmp_gt_i32_e32 vcc_lo, 1, v12
	s_wait_alu 0xfffd
	s_delay_alu instid0(VALU_DEP_2) | instskip(SKIP_2) | instid1(VALU_DEP_3)
	v_dual_cndmask_b32 v6, v14, v6 :: v_dual_and_b32 v13, 7, v11
	v_cmp_ne_u32_e32 vcc_lo, 0, v4
	v_lshrrev_b32_e32 v11, 2, v11
	v_cmp_eq_u32_e64 s0, 3, v13
	s_delay_alu instid0(VALU_DEP_4)
	v_and_b32_e32 v14, 7, v6
	s_wait_alu 0xfffd
	v_cndmask_b32_e64 v4, 0, 1, vcc_lo
	v_cmp_ne_u32_e32 vcc_lo, 0, v8
	v_lshrrev_b32_e32 v6, 2, v6
	v_cmp_lt_i32_e64 s1, 5, v14
	v_cmp_eq_u32_e64 s2, 3, v14
	s_wait_alu 0xfffd
	v_cndmask_b32_e64 v8, 0, 1, vcc_lo
	v_cmp_lt_i32_e32 vcc_lo, 5, v13
	v_lshl_or_b32 v4, v4, 9, 0x7c00
	s_delay_alu instid0(VALU_DEP_3)
	v_lshl_or_b32 v8, v8, 9, 0x7c00
	s_or_b32 vcc_lo, s0, vcc_lo
	s_wait_alu 0xfffe
	v_add_co_ci_u32_e32 v11, vcc_lo, 0, v11, vcc_lo
	s_or_b32 vcc_lo, s2, s1
	s_wait_alu 0xfffe
	v_add_co_ci_u32_e32 v6, vcc_lo, 0, v6, vcc_lo
	v_cmp_gt_i32_e32 vcc_lo, 31, v10
	s_wait_alu 0xfffd
	v_cndmask_b32_e32 v11, 0x7c00, v11, vcc_lo
	v_cmp_gt_i32_e32 vcc_lo, 31, v12
	s_wait_alu 0xfffd
	v_cndmask_b32_e32 v6, 0x7c00, v6, vcc_lo
	v_cmp_eq_u32_e32 vcc_lo, 0x40f, v10
	s_wait_alu 0xfffd
	v_cndmask_b32_e32 v4, v11, v4, vcc_lo
	v_cmp_eq_u32_e32 vcc_lo, 0x40f, v12
	s_delay_alu instid0(VALU_DEP_2)
	v_and_or_b32 v4, 0x8000, v7, v4
	s_wait_alu 0xfffd
	v_cndmask_b32_e32 v6, v6, v8, vcc_lo
	v_add_co_u32 v2, vcc_lo, v2, s4
	s_wait_alu 0xfffd
	v_add_co_ci_u32_e32 v3, vcc_lo, s5, v3, vcc_lo
	s_delay_alu instid0(VALU_DEP_3) | instskip(SKIP_1) | instid1(VALU_DEP_1)
	v_and_or_b32 v6, 0x8000, v9, v6
	v_and_b32_e32 v4, 0xffff, v4
	v_lshl_or_b32 v4, v6, 16, v4
	v_lshrrev_b32_e32 v6, 16, v5
	global_store_b32 v[2:3], v4, off
	global_load_b32 v4, v47, s[12:13] offset:4368
	s_wait_loadcnt 0x0
	v_lshrrev_b32_e32 v7, 16, v4
	s_delay_alu instid0(VALU_DEP_1) | instskip(SKIP_1) | instid1(VALU_DEP_2)
	v_mul_f16_e32 v8, v6, v7
	v_mul_f16_e32 v7, v5, v7
	v_fmac_f16_e32 v8, v5, v4
	s_delay_alu instid0(VALU_DEP_2) | instskip(NEXT) | instid1(VALU_DEP_2)
	v_fma_f16 v4, v4, v6, -v7
	v_cvt_f32_f16_e32 v5, v8
	s_delay_alu instid0(VALU_DEP_2) | instskip(NEXT) | instid1(VALU_DEP_2)
	v_cvt_f32_f16_e32 v6, v4
	v_cvt_f64_f32_e32 v[4:5], v5
	s_delay_alu instid0(VALU_DEP_2) | instskip(NEXT) | instid1(VALU_DEP_2)
	v_cvt_f64_f32_e32 v[6:7], v6
	v_mul_f64_e32 v[4:5], s[8:9], v[4:5]
	s_delay_alu instid0(VALU_DEP_2) | instskip(NEXT) | instid1(VALU_DEP_2)
	v_mul_f64_e32 v[6:7], s[8:9], v[6:7]
	v_and_or_b32 v4, 0x1ff, v5, v4
	s_delay_alu instid0(VALU_DEP_2)
	v_and_or_b32 v6, 0x1ff, v7, v6
	v_lshrrev_b32_e32 v8, 8, v5
	v_bfe_u32 v9, v5, 20, 11
	v_lshrrev_b32_e32 v10, 8, v7
	v_cmp_ne_u32_e32 vcc_lo, 0, v4
	v_bfe_u32 v11, v7, 20, 11
	v_lshrrev_b32_e32 v5, 16, v5
	v_sub_nc_u32_e32 v12, 0x3f1, v9
	v_add_nc_u32_e32 v9, 0xfffffc10, v9
	s_wait_alu 0xfffd
	v_cndmask_b32_e64 v4, 0, 1, vcc_lo
	v_cmp_ne_u32_e32 vcc_lo, 0, v6
	v_lshrrev_b32_e32 v7, 16, v7
	s_delay_alu instid0(VALU_DEP_3) | instskip(SKIP_4) | instid1(VALU_DEP_3)
	v_and_or_b32 v4, 0xffe, v8, v4
	s_wait_alu 0xfffd
	v_cndmask_b32_e64 v6, 0, 1, vcc_lo
	v_sub_nc_u32_e32 v8, 0x3f1, v11
	v_add_nc_u32_e32 v11, 0xfffffc10, v11
	v_and_or_b32 v6, 0xffe, v10, v6
	v_med3_i32 v10, v12, 0, 13
	v_or_b32_e32 v12, 0x1000, v4
	v_med3_i32 v8, v8, 0, 13
	s_delay_alu instid0(VALU_DEP_4) | instskip(NEXT) | instid1(VALU_DEP_3)
	v_or_b32_e32 v13, 0x1000, v6
	v_lshrrev_b32_e32 v14, v10, v12
	s_delay_alu instid0(VALU_DEP_2) | instskip(NEXT) | instid1(VALU_DEP_2)
	v_lshrrev_b32_e32 v15, v8, v13
	v_lshlrev_b32_e32 v10, v10, v14
	s_delay_alu instid0(VALU_DEP_2) | instskip(NEXT) | instid1(VALU_DEP_2)
	v_lshlrev_b32_e32 v8, v8, v15
	v_cmp_ne_u32_e32 vcc_lo, v10, v12
	v_lshl_or_b32 v12, v9, 12, v4
	s_wait_alu 0xfffd
	v_cndmask_b32_e64 v10, 0, 1, vcc_lo
	v_cmp_ne_u32_e32 vcc_lo, v8, v13
	v_lshl_or_b32 v13, v11, 12, v6
	s_delay_alu instid0(VALU_DEP_3) | instskip(SKIP_3) | instid1(VALU_DEP_2)
	v_or_b32_e32 v10, v14, v10
	s_wait_alu 0xfffd
	v_cndmask_b32_e64 v8, 0, 1, vcc_lo
	v_cmp_gt_i32_e32 vcc_lo, 1, v9
	v_or_b32_e32 v8, v15, v8
	s_wait_alu 0xfffd
	v_cndmask_b32_e32 v10, v12, v10, vcc_lo
	v_cmp_gt_i32_e32 vcc_lo, 1, v11
	s_delay_alu instid0(VALU_DEP_2)
	v_and_b32_e32 v12, 7, v10
	s_wait_alu 0xfffd
	v_cndmask_b32_e32 v8, v13, v8, vcc_lo
	v_cmp_ne_u32_e32 vcc_lo, 0, v4
	v_lshrrev_b32_e32 v10, 2, v10
	v_cmp_eq_u32_e64 s0, 3, v12
	s_delay_alu instid0(VALU_DEP_4)
	v_and_b32_e32 v13, 7, v8
	s_wait_alu 0xfffd
	v_cndmask_b32_e64 v4, 0, 1, vcc_lo
	v_cmp_ne_u32_e32 vcc_lo, 0, v6
	v_lshrrev_b32_e32 v8, 2, v8
	v_cmp_lt_i32_e64 s1, 5, v13
	v_cmp_eq_u32_e64 s2, 3, v13
	s_wait_alu 0xfffd
	v_cndmask_b32_e64 v6, 0, 1, vcc_lo
	v_cmp_lt_i32_e32 vcc_lo, 5, v12
	v_lshl_or_b32 v4, v4, 9, 0x7c00
	s_delay_alu instid0(VALU_DEP_3)
	v_lshl_or_b32 v6, v6, 9, 0x7c00
	s_or_b32 vcc_lo, s0, vcc_lo
	s_wait_alu 0xfffe
	v_add_co_ci_u32_e32 v10, vcc_lo, 0, v10, vcc_lo
	s_or_b32 vcc_lo, s2, s1
	s_wait_alu 0xfffe
	v_add_co_ci_u32_e32 v8, vcc_lo, 0, v8, vcc_lo
	v_cmp_gt_i32_e32 vcc_lo, 31, v9
	s_wait_alu 0xfffd
	v_cndmask_b32_e32 v10, 0x7c00, v10, vcc_lo
	v_cmp_gt_i32_e32 vcc_lo, 31, v11
	s_wait_alu 0xfffd
	v_cndmask_b32_e32 v8, 0x7c00, v8, vcc_lo
	v_cmp_eq_u32_e32 vcc_lo, 0x40f, v9
	s_wait_alu 0xfffd
	v_cndmask_b32_e32 v4, v10, v4, vcc_lo
	v_cmp_eq_u32_e32 vcc_lo, 0x40f, v11
	s_delay_alu instid0(VALU_DEP_2)
	v_and_or_b32 v4, 0x8000, v5, v4
	s_wait_alu 0xfffd
	v_cndmask_b32_e32 v6, v8, v6, vcc_lo
	v_add_co_u32 v2, vcc_lo, v2, s4
	s_wait_alu 0xfffd
	v_add_co_ci_u32_e32 v3, vcc_lo, s5, v3, vcc_lo
	s_delay_alu instid0(VALU_DEP_3) | instskip(SKIP_1) | instid1(VALU_DEP_1)
	v_and_or_b32 v5, 0x8000, v7, v6
	v_and_b32_e32 v4, 0xffff, v4
	v_lshl_or_b32 v4, v5, 16, v4
	global_store_b32 v[2:3], v4, off
	global_load_b32 v6, v47, s[12:13] offset:4732
	ds_load_2addr_b32 v[4:5], v1 offset0:159 offset1:250
	s_wait_dscnt 0x0
	v_lshrrev_b32_e32 v1, 16, v4
	s_wait_loadcnt 0x0
	v_lshrrev_b32_e32 v7, 16, v6
	s_delay_alu instid0(VALU_DEP_1) | instskip(SKIP_1) | instid1(VALU_DEP_2)
	v_mul_f16_e32 v8, v1, v7
	v_mul_f16_e32 v7, v4, v7
	v_fmac_f16_e32 v8, v4, v6
	s_delay_alu instid0(VALU_DEP_2) | instskip(NEXT) | instid1(VALU_DEP_2)
	v_fma_f16 v1, v6, v1, -v7
	v_cvt_f32_f16_e32 v4, v8
	s_delay_alu instid0(VALU_DEP_2) | instskip(NEXT) | instid1(VALU_DEP_2)
	v_cvt_f32_f16_e32 v1, v1
	v_cvt_f64_f32_e32 v[6:7], v4
	s_delay_alu instid0(VALU_DEP_2) | instskip(NEXT) | instid1(VALU_DEP_2)
	v_cvt_f64_f32_e32 v[8:9], v1
	v_mul_f64_e32 v[6:7], s[8:9], v[6:7]
	s_delay_alu instid0(VALU_DEP_2) | instskip(NEXT) | instid1(VALU_DEP_2)
	v_mul_f64_e32 v[8:9], s[8:9], v[8:9]
	v_and_or_b32 v1, 0x1ff, v7, v6
	s_delay_alu instid0(VALU_DEP_2)
	v_and_or_b32 v8, 0x1ff, v9, v8
	v_lshrrev_b32_e32 v4, 8, v7
	v_bfe_u32 v6, v7, 20, 11
	v_lshrrev_b32_e32 v10, 8, v9
	v_cmp_ne_u32_e32 vcc_lo, 0, v1
	v_bfe_u32 v11, v9, 20, 11
	v_lshrrev_b32_e32 v7, 16, v7
	v_sub_nc_u32_e32 v12, 0x3f1, v6
	v_add_nc_u32_e32 v6, 0xfffffc10, v6
	s_wait_alu 0xfffd
	v_cndmask_b32_e64 v1, 0, 1, vcc_lo
	v_cmp_ne_u32_e32 vcc_lo, 0, v8
	s_delay_alu instid0(VALU_DEP_2) | instskip(SKIP_4) | instid1(VALU_DEP_3)
	v_and_or_b32 v1, 0xffe, v4, v1
	s_wait_alu 0xfffd
	v_cndmask_b32_e64 v8, 0, 1, vcc_lo
	v_sub_nc_u32_e32 v4, 0x3f1, v11
	v_add_nc_u32_e32 v11, 0xfffffc10, v11
	v_and_or_b32 v8, 0xffe, v10, v8
	v_med3_i32 v10, v12, 0, 13
	v_or_b32_e32 v12, 0x1000, v1
	v_med3_i32 v4, v4, 0, 13
	s_delay_alu instid0(VALU_DEP_4) | instskip(NEXT) | instid1(VALU_DEP_3)
	v_or_b32_e32 v13, 0x1000, v8
	v_lshrrev_b32_e32 v14, v10, v12
	s_delay_alu instid0(VALU_DEP_2) | instskip(NEXT) | instid1(VALU_DEP_2)
	v_lshrrev_b32_e32 v15, v4, v13
	v_lshlrev_b32_e32 v10, v10, v14
	s_delay_alu instid0(VALU_DEP_2) | instskip(NEXT) | instid1(VALU_DEP_2)
	v_lshlrev_b32_e32 v4, v4, v15
	v_cmp_ne_u32_e32 vcc_lo, v10, v12
	v_lshl_or_b32 v12, v6, 12, v1
	s_wait_alu 0xfffd
	v_cndmask_b32_e64 v10, 0, 1, vcc_lo
	v_cmp_ne_u32_e32 vcc_lo, v4, v13
	v_lshl_or_b32 v13, v11, 12, v8
	s_delay_alu instid0(VALU_DEP_3) | instskip(SKIP_3) | instid1(VALU_DEP_2)
	v_or_b32_e32 v10, v14, v10
	s_wait_alu 0xfffd
	v_cndmask_b32_e64 v4, 0, 1, vcc_lo
	v_cmp_gt_i32_e32 vcc_lo, 1, v6
	v_or_b32_e32 v4, v15, v4
	s_wait_alu 0xfffd
	v_cndmask_b32_e32 v10, v12, v10, vcc_lo
	v_cmp_gt_i32_e32 vcc_lo, 1, v11
	s_delay_alu instid0(VALU_DEP_2)
	v_and_b32_e32 v12, 7, v10
	s_wait_alu 0xfffd
	v_cndmask_b32_e32 v4, v13, v4, vcc_lo
	v_cmp_ne_u32_e32 vcc_lo, 0, v1
	v_lshrrev_b32_e32 v10, 2, v10
	v_cmp_eq_u32_e64 s0, 3, v12
	s_delay_alu instid0(VALU_DEP_4)
	v_and_b32_e32 v13, 7, v4
	s_wait_alu 0xfffd
	v_cndmask_b32_e64 v1, 0, 1, vcc_lo
	v_cmp_ne_u32_e32 vcc_lo, 0, v8
	v_lshrrev_b32_e32 v4, 2, v4
	v_cmp_lt_i32_e64 s1, 5, v13
	v_cmp_eq_u32_e64 s2, 3, v13
	s_wait_alu 0xfffd
	v_cndmask_b32_e64 v8, 0, 1, vcc_lo
	v_cmp_lt_i32_e32 vcc_lo, 5, v12
	v_lshl_or_b32 v1, v1, 9, 0x7c00
	s_delay_alu instid0(VALU_DEP_3)
	v_lshl_or_b32 v8, v8, 9, 0x7c00
	s_or_b32 vcc_lo, s0, vcc_lo
	s_wait_alu 0xfffe
	v_add_co_ci_u32_e32 v10, vcc_lo, 0, v10, vcc_lo
	s_or_b32 vcc_lo, s2, s1
	s_wait_alu 0xfffe
	v_add_co_ci_u32_e32 v4, vcc_lo, 0, v4, vcc_lo
	v_cmp_gt_i32_e32 vcc_lo, 31, v6
	s_wait_alu 0xfffd
	v_cndmask_b32_e32 v10, 0x7c00, v10, vcc_lo
	v_cmp_gt_i32_e32 vcc_lo, 31, v11
	s_wait_alu 0xfffd
	v_cndmask_b32_e32 v4, 0x7c00, v4, vcc_lo
	v_cmp_eq_u32_e32 vcc_lo, 0x40f, v6
	v_lshrrev_b32_e32 v6, 16, v9
	s_wait_alu 0xfffd
	v_cndmask_b32_e32 v1, v10, v1, vcc_lo
	v_cmp_eq_u32_e32 vcc_lo, 0x40f, v11
	s_delay_alu instid0(VALU_DEP_2) | instskip(SKIP_2) | instid1(VALU_DEP_1)
	v_and_or_b32 v1, 0x8000, v7, v1
	s_wait_alu 0xfffd
	v_cndmask_b32_e32 v4, v4, v8, vcc_lo
	v_and_or_b32 v4, 0x8000, v6, v4
	s_delay_alu instid0(VALU_DEP_3) | instskip(SKIP_3) | instid1(VALU_DEP_3)
	v_and_b32_e32 v6, 0xffff, v1
	v_add_co_u32 v1, vcc_lo, v2, s4
	s_wait_alu 0xfffd
	v_add_co_ci_u32_e32 v2, vcc_lo, s5, v3, vcc_lo
	v_lshl_or_b32 v3, v4, 16, v6
	v_lshrrev_b32_e32 v4, 16, v5
	global_store_b32 v[1:2], v3, off
	global_load_b32 v3, v47, s[12:13] offset:5096
	s_wait_loadcnt 0x0
	v_lshrrev_b32_e32 v6, 16, v3
	s_delay_alu instid0(VALU_DEP_1) | instskip(SKIP_1) | instid1(VALU_DEP_2)
	v_mul_f16_e32 v7, v4, v6
	v_mul_f16_e32 v6, v5, v6
	v_fmac_f16_e32 v7, v5, v3
	s_delay_alu instid0(VALU_DEP_2) | instskip(NEXT) | instid1(VALU_DEP_2)
	v_fma_f16 v3, v3, v4, -v6
	v_cvt_f32_f16_e32 v4, v7
	s_delay_alu instid0(VALU_DEP_2) | instskip(NEXT) | instid1(VALU_DEP_2)
	v_cvt_f32_f16_e32 v5, v3
	v_cvt_f64_f32_e32 v[3:4], v4
	s_delay_alu instid0(VALU_DEP_2) | instskip(NEXT) | instid1(VALU_DEP_2)
	v_cvt_f64_f32_e32 v[5:6], v5
	v_mul_f64_e32 v[3:4], s[8:9], v[3:4]
	s_delay_alu instid0(VALU_DEP_2) | instskip(NEXT) | instid1(VALU_DEP_2)
	v_mul_f64_e32 v[5:6], s[8:9], v[5:6]
	v_and_or_b32 v3, 0x1ff, v4, v3
	s_delay_alu instid0(VALU_DEP_2)
	v_and_or_b32 v5, 0x1ff, v6, v5
	v_lshrrev_b32_e32 v7, 8, v4
	v_bfe_u32 v8, v4, 20, 11
	v_lshrrev_b32_e32 v9, 8, v6
	v_cmp_ne_u32_e32 vcc_lo, 0, v3
	v_bfe_u32 v10, v6, 20, 11
	v_lshrrev_b32_e32 v4, 16, v4
	v_sub_nc_u32_e32 v11, 0x3f1, v8
	v_add_nc_u32_e32 v8, 0xfffffc10, v8
	s_wait_alu 0xfffd
	v_cndmask_b32_e64 v3, 0, 1, vcc_lo
	v_cmp_ne_u32_e32 vcc_lo, 0, v5
	v_lshrrev_b32_e32 v6, 16, v6
	s_delay_alu instid0(VALU_DEP_3) | instskip(SKIP_4) | instid1(VALU_DEP_3)
	v_and_or_b32 v3, 0xffe, v7, v3
	s_wait_alu 0xfffd
	v_cndmask_b32_e64 v5, 0, 1, vcc_lo
	v_sub_nc_u32_e32 v7, 0x3f1, v10
	v_add_nc_u32_e32 v10, 0xfffffc10, v10
	v_and_or_b32 v5, 0xffe, v9, v5
	v_med3_i32 v9, v11, 0, 13
	v_or_b32_e32 v11, 0x1000, v3
	v_med3_i32 v7, v7, 0, 13
	s_delay_alu instid0(VALU_DEP_4) | instskip(NEXT) | instid1(VALU_DEP_3)
	v_or_b32_e32 v12, 0x1000, v5
	v_lshrrev_b32_e32 v13, v9, v11
	s_delay_alu instid0(VALU_DEP_2) | instskip(NEXT) | instid1(VALU_DEP_2)
	v_lshrrev_b32_e32 v14, v7, v12
	v_lshlrev_b32_e32 v9, v9, v13
	s_delay_alu instid0(VALU_DEP_2) | instskip(NEXT) | instid1(VALU_DEP_2)
	v_lshlrev_b32_e32 v7, v7, v14
	v_cmp_ne_u32_e32 vcc_lo, v9, v11
	v_lshl_or_b32 v11, v8, 12, v3
	s_wait_alu 0xfffd
	v_cndmask_b32_e64 v9, 0, 1, vcc_lo
	v_cmp_ne_u32_e32 vcc_lo, v7, v12
	v_lshl_or_b32 v12, v10, 12, v5
	s_delay_alu instid0(VALU_DEP_3) | instskip(SKIP_3) | instid1(VALU_DEP_2)
	v_or_b32_e32 v9, v13, v9
	s_wait_alu 0xfffd
	v_cndmask_b32_e64 v7, 0, 1, vcc_lo
	v_cmp_gt_i32_e32 vcc_lo, 1, v8
	v_or_b32_e32 v7, v14, v7
	s_wait_alu 0xfffd
	v_cndmask_b32_e32 v9, v11, v9, vcc_lo
	v_cmp_gt_i32_e32 vcc_lo, 1, v10
	s_delay_alu instid0(VALU_DEP_2)
	v_and_b32_e32 v11, 7, v9
	s_wait_alu 0xfffd
	v_cndmask_b32_e32 v7, v12, v7, vcc_lo
	v_cmp_ne_u32_e32 vcc_lo, 0, v3
	v_lshrrev_b32_e32 v9, 2, v9
	v_cmp_eq_u32_e64 s0, 3, v11
	s_delay_alu instid0(VALU_DEP_4)
	v_and_b32_e32 v12, 7, v7
	s_wait_alu 0xfffd
	v_cndmask_b32_e64 v3, 0, 1, vcc_lo
	v_cmp_ne_u32_e32 vcc_lo, 0, v5
	v_lshrrev_b32_e32 v7, 2, v7
	v_cmp_lt_i32_e64 s1, 5, v12
	v_cmp_eq_u32_e64 s2, 3, v12
	s_wait_alu 0xfffd
	v_cndmask_b32_e64 v5, 0, 1, vcc_lo
	v_cmp_lt_i32_e32 vcc_lo, 5, v11
	v_lshl_or_b32 v3, v3, 9, 0x7c00
	s_delay_alu instid0(VALU_DEP_3)
	v_lshl_or_b32 v5, v5, 9, 0x7c00
	s_or_b32 vcc_lo, s0, vcc_lo
	s_wait_alu 0xfffe
	v_add_co_ci_u32_e32 v9, vcc_lo, 0, v9, vcc_lo
	s_or_b32 vcc_lo, s2, s1
	s_wait_alu 0xfffe
	v_add_co_ci_u32_e32 v7, vcc_lo, 0, v7, vcc_lo
	v_cmp_gt_i32_e32 vcc_lo, 31, v8
	s_wait_alu 0xfffd
	v_cndmask_b32_e32 v9, 0x7c00, v9, vcc_lo
	v_cmp_gt_i32_e32 vcc_lo, 31, v10
	s_wait_alu 0xfffd
	v_cndmask_b32_e32 v7, 0x7c00, v7, vcc_lo
	v_cmp_eq_u32_e32 vcc_lo, 0x40f, v8
	s_wait_alu 0xfffd
	v_cndmask_b32_e32 v3, v9, v3, vcc_lo
	v_cmp_eq_u32_e32 vcc_lo, 0x40f, v10
	s_delay_alu instid0(VALU_DEP_2)
	v_and_or_b32 v3, 0x8000, v4, v3
	s_wait_alu 0xfffd
	v_cndmask_b32_e32 v5, v7, v5, vcc_lo
	v_add_co_u32 v1, vcc_lo, v1, s4
	s_wait_alu 0xfffd
	v_add_co_ci_u32_e32 v2, vcc_lo, s5, v2, vcc_lo
	s_delay_alu instid0(VALU_DEP_3) | instskip(SKIP_1) | instid1(VALU_DEP_1)
	v_and_or_b32 v4, 0x8000, v6, v5
	v_and_b32_e32 v3, 0xffff, v3
	v_lshl_or_b32 v3, v4, 16, v3
	global_store_b32 v[1:2], v3, off
	global_load_b32 v5, v47, s[12:13] offset:5460
	ds_load_2addr_b32 v[3:4], v0 offset0:85 offset1:176
	s_wait_dscnt 0x0
	v_lshrrev_b32_e32 v0, 16, v3
	s_wait_loadcnt 0x0
	v_lshrrev_b32_e32 v6, 16, v5
	s_delay_alu instid0(VALU_DEP_1) | instskip(SKIP_1) | instid1(VALU_DEP_2)
	v_mul_f16_e32 v7, v0, v6
	v_mul_f16_e32 v6, v3, v6
	v_fmac_f16_e32 v7, v3, v5
	s_delay_alu instid0(VALU_DEP_2) | instskip(NEXT) | instid1(VALU_DEP_2)
	v_fma_f16 v0, v5, v0, -v6
	v_cvt_f32_f16_e32 v3, v7
	s_delay_alu instid0(VALU_DEP_2) | instskip(NEXT) | instid1(VALU_DEP_2)
	v_cvt_f32_f16_e32 v0, v0
	v_cvt_f64_f32_e32 v[5:6], v3
	s_delay_alu instid0(VALU_DEP_2) | instskip(NEXT) | instid1(VALU_DEP_2)
	v_cvt_f64_f32_e32 v[7:8], v0
	v_mul_f64_e32 v[5:6], s[8:9], v[5:6]
	s_delay_alu instid0(VALU_DEP_2) | instskip(NEXT) | instid1(VALU_DEP_2)
	v_mul_f64_e32 v[7:8], s[8:9], v[7:8]
	v_and_or_b32 v0, 0x1ff, v6, v5
	s_delay_alu instid0(VALU_DEP_2)
	v_and_or_b32 v7, 0x1ff, v8, v7
	v_lshrrev_b32_e32 v3, 8, v6
	v_bfe_u32 v5, v6, 20, 11
	v_lshrrev_b32_e32 v9, 8, v8
	v_cmp_ne_u32_e32 vcc_lo, 0, v0
	v_bfe_u32 v10, v8, 20, 11
	v_lshrrev_b32_e32 v6, 16, v6
	v_sub_nc_u32_e32 v11, 0x3f1, v5
	v_add_nc_u32_e32 v5, 0xfffffc10, v5
	s_wait_alu 0xfffd
	v_cndmask_b32_e64 v0, 0, 1, vcc_lo
	v_cmp_ne_u32_e32 vcc_lo, 0, v7
	s_delay_alu instid0(VALU_DEP_2) | instskip(SKIP_4) | instid1(VALU_DEP_3)
	v_and_or_b32 v0, 0xffe, v3, v0
	s_wait_alu 0xfffd
	v_cndmask_b32_e64 v7, 0, 1, vcc_lo
	v_sub_nc_u32_e32 v3, 0x3f1, v10
	v_add_nc_u32_e32 v10, 0xfffffc10, v10
	v_and_or_b32 v7, 0xffe, v9, v7
	v_med3_i32 v9, v11, 0, 13
	v_or_b32_e32 v11, 0x1000, v0
	v_med3_i32 v3, v3, 0, 13
	s_delay_alu instid0(VALU_DEP_4) | instskip(NEXT) | instid1(VALU_DEP_3)
	v_or_b32_e32 v12, 0x1000, v7
	v_lshrrev_b32_e32 v13, v9, v11
	s_delay_alu instid0(VALU_DEP_2) | instskip(NEXT) | instid1(VALU_DEP_2)
	v_lshrrev_b32_e32 v14, v3, v12
	v_lshlrev_b32_e32 v9, v9, v13
	s_delay_alu instid0(VALU_DEP_2) | instskip(NEXT) | instid1(VALU_DEP_2)
	v_lshlrev_b32_e32 v3, v3, v14
	v_cmp_ne_u32_e32 vcc_lo, v9, v11
	v_lshl_or_b32 v11, v5, 12, v0
	s_wait_alu 0xfffd
	v_cndmask_b32_e64 v9, 0, 1, vcc_lo
	v_cmp_ne_u32_e32 vcc_lo, v3, v12
	v_lshl_or_b32 v12, v10, 12, v7
	s_delay_alu instid0(VALU_DEP_3) | instskip(SKIP_3) | instid1(VALU_DEP_2)
	v_or_b32_e32 v9, v13, v9
	s_wait_alu 0xfffd
	v_cndmask_b32_e64 v3, 0, 1, vcc_lo
	v_cmp_gt_i32_e32 vcc_lo, 1, v5
	v_or_b32_e32 v3, v14, v3
	s_wait_alu 0xfffd
	v_cndmask_b32_e32 v9, v11, v9, vcc_lo
	v_cmp_gt_i32_e32 vcc_lo, 1, v10
	s_delay_alu instid0(VALU_DEP_2)
	v_and_b32_e32 v11, 7, v9
	s_wait_alu 0xfffd
	v_cndmask_b32_e32 v3, v12, v3, vcc_lo
	v_cmp_ne_u32_e32 vcc_lo, 0, v0
	v_lshrrev_b32_e32 v9, 2, v9
	v_cmp_eq_u32_e64 s0, 3, v11
	s_delay_alu instid0(VALU_DEP_4)
	v_and_b32_e32 v12, 7, v3
	s_wait_alu 0xfffd
	v_cndmask_b32_e64 v0, 0, 1, vcc_lo
	v_cmp_ne_u32_e32 vcc_lo, 0, v7
	v_lshrrev_b32_e32 v3, 2, v3
	v_cmp_lt_i32_e64 s1, 5, v12
	v_cmp_eq_u32_e64 s2, 3, v12
	s_wait_alu 0xfffd
	v_cndmask_b32_e64 v7, 0, 1, vcc_lo
	v_cmp_lt_i32_e32 vcc_lo, 5, v11
	v_lshl_or_b32 v0, v0, 9, 0x7c00
	s_delay_alu instid0(VALU_DEP_3)
	v_lshl_or_b32 v7, v7, 9, 0x7c00
	s_or_b32 vcc_lo, s0, vcc_lo
	s_wait_alu 0xfffe
	v_add_co_ci_u32_e32 v9, vcc_lo, 0, v9, vcc_lo
	s_or_b32 vcc_lo, s2, s1
	s_wait_alu 0xfffe
	v_add_co_ci_u32_e32 v3, vcc_lo, 0, v3, vcc_lo
	v_cmp_gt_i32_e32 vcc_lo, 31, v5
	s_wait_alu 0xfffd
	v_cndmask_b32_e32 v9, 0x7c00, v9, vcc_lo
	v_cmp_gt_i32_e32 vcc_lo, 31, v10
	s_wait_alu 0xfffd
	v_cndmask_b32_e32 v3, 0x7c00, v3, vcc_lo
	v_cmp_eq_u32_e32 vcc_lo, 0x40f, v5
	v_lshrrev_b32_e32 v5, 16, v8
	s_wait_alu 0xfffd
	v_cndmask_b32_e32 v0, v9, v0, vcc_lo
	v_cmp_eq_u32_e32 vcc_lo, 0x40f, v10
	s_delay_alu instid0(VALU_DEP_2) | instskip(SKIP_2) | instid1(VALU_DEP_1)
	v_and_or_b32 v0, 0x8000, v6, v0
	s_wait_alu 0xfffd
	v_cndmask_b32_e32 v3, v3, v7, vcc_lo
	v_and_or_b32 v3, 0x8000, v5, v3
	s_delay_alu instid0(VALU_DEP_3) | instskip(SKIP_3) | instid1(VALU_DEP_3)
	v_and_b32_e32 v5, 0xffff, v0
	v_add_co_u32 v0, vcc_lo, v1, s4
	s_wait_alu 0xfffd
	v_add_co_ci_u32_e32 v1, vcc_lo, s5, v2, vcc_lo
	v_lshl_or_b32 v2, v3, 16, v5
	v_lshrrev_b32_e32 v3, 16, v4
	global_store_b32 v[0:1], v2, off
	global_load_b32 v2, v47, s[12:13] offset:5824
	s_wait_loadcnt 0x0
	v_lshrrev_b32_e32 v5, 16, v2
	s_delay_alu instid0(VALU_DEP_1) | instskip(SKIP_1) | instid1(VALU_DEP_2)
	v_mul_f16_e32 v6, v3, v5
	v_mul_f16_e32 v5, v4, v5
	v_fmac_f16_e32 v6, v4, v2
	s_delay_alu instid0(VALU_DEP_2) | instskip(NEXT) | instid1(VALU_DEP_2)
	v_fma_f16 v2, v2, v3, -v5
	v_cvt_f32_f16_e32 v3, v6
	s_delay_alu instid0(VALU_DEP_2) | instskip(NEXT) | instid1(VALU_DEP_2)
	v_cvt_f32_f16_e32 v4, v2
	v_cvt_f64_f32_e32 v[2:3], v3
	s_delay_alu instid0(VALU_DEP_2) | instskip(NEXT) | instid1(VALU_DEP_2)
	v_cvt_f64_f32_e32 v[4:5], v4
	v_mul_f64_e32 v[2:3], s[8:9], v[2:3]
	s_delay_alu instid0(VALU_DEP_2) | instskip(NEXT) | instid1(VALU_DEP_2)
	v_mul_f64_e32 v[4:5], s[8:9], v[4:5]
	v_and_or_b32 v2, 0x1ff, v3, v2
	s_delay_alu instid0(VALU_DEP_2)
	v_and_or_b32 v4, 0x1ff, v5, v4
	v_lshrrev_b32_e32 v6, 8, v3
	v_bfe_u32 v7, v3, 20, 11
	v_lshrrev_b32_e32 v8, 8, v5
	v_cmp_ne_u32_e32 vcc_lo, 0, v2
	v_bfe_u32 v9, v5, 20, 11
	v_lshrrev_b32_e32 v3, 16, v3
	v_sub_nc_u32_e32 v10, 0x3f1, v7
	v_add_nc_u32_e32 v7, 0xfffffc10, v7
	s_wait_alu 0xfffd
	v_cndmask_b32_e64 v2, 0, 1, vcc_lo
	v_cmp_ne_u32_e32 vcc_lo, 0, v4
	v_lshrrev_b32_e32 v5, 16, v5
	s_delay_alu instid0(VALU_DEP_3) | instskip(SKIP_4) | instid1(VALU_DEP_3)
	v_and_or_b32 v2, 0xffe, v6, v2
	s_wait_alu 0xfffd
	v_cndmask_b32_e64 v4, 0, 1, vcc_lo
	v_sub_nc_u32_e32 v6, 0x3f1, v9
	v_add_nc_u32_e32 v9, 0xfffffc10, v9
	v_and_or_b32 v4, 0xffe, v8, v4
	v_med3_i32 v8, v10, 0, 13
	v_or_b32_e32 v10, 0x1000, v2
	v_med3_i32 v6, v6, 0, 13
	s_delay_alu instid0(VALU_DEP_4) | instskip(NEXT) | instid1(VALU_DEP_3)
	v_or_b32_e32 v11, 0x1000, v4
	v_lshrrev_b32_e32 v12, v8, v10
	s_delay_alu instid0(VALU_DEP_2) | instskip(NEXT) | instid1(VALU_DEP_2)
	v_lshrrev_b32_e32 v13, v6, v11
	v_lshlrev_b32_e32 v8, v8, v12
	s_delay_alu instid0(VALU_DEP_2) | instskip(NEXT) | instid1(VALU_DEP_2)
	v_lshlrev_b32_e32 v6, v6, v13
	v_cmp_ne_u32_e32 vcc_lo, v8, v10
	v_lshl_or_b32 v10, v7, 12, v2
	s_wait_alu 0xfffd
	v_cndmask_b32_e64 v8, 0, 1, vcc_lo
	v_cmp_ne_u32_e32 vcc_lo, v6, v11
	v_lshl_or_b32 v11, v9, 12, v4
	s_delay_alu instid0(VALU_DEP_3) | instskip(SKIP_3) | instid1(VALU_DEP_2)
	v_or_b32_e32 v8, v12, v8
	s_wait_alu 0xfffd
	v_cndmask_b32_e64 v6, 0, 1, vcc_lo
	v_cmp_gt_i32_e32 vcc_lo, 1, v7
	v_or_b32_e32 v6, v13, v6
	s_wait_alu 0xfffd
	v_cndmask_b32_e32 v8, v10, v8, vcc_lo
	v_cmp_gt_i32_e32 vcc_lo, 1, v9
	s_delay_alu instid0(VALU_DEP_2)
	v_and_b32_e32 v10, 7, v8
	s_wait_alu 0xfffd
	v_cndmask_b32_e32 v6, v11, v6, vcc_lo
	v_cmp_ne_u32_e32 vcc_lo, 0, v2
	v_lshrrev_b32_e32 v8, 2, v8
	v_cmp_eq_u32_e64 s0, 3, v10
	s_delay_alu instid0(VALU_DEP_4)
	v_and_b32_e32 v11, 7, v6
	s_wait_alu 0xfffd
	v_cndmask_b32_e64 v2, 0, 1, vcc_lo
	v_cmp_ne_u32_e32 vcc_lo, 0, v4
	v_lshrrev_b32_e32 v6, 2, v6
	v_cmp_lt_i32_e64 s1, 5, v11
	v_cmp_eq_u32_e64 s2, 3, v11
	s_wait_alu 0xfffd
	v_cndmask_b32_e64 v4, 0, 1, vcc_lo
	v_cmp_lt_i32_e32 vcc_lo, 5, v10
	v_lshl_or_b32 v2, v2, 9, 0x7c00
	s_delay_alu instid0(VALU_DEP_3)
	v_lshl_or_b32 v4, v4, 9, 0x7c00
	s_or_b32 vcc_lo, s0, vcc_lo
	s_wait_alu 0xfffe
	v_add_co_ci_u32_e32 v8, vcc_lo, 0, v8, vcc_lo
	s_or_b32 vcc_lo, s2, s1
	s_wait_alu 0xfffe
	v_add_co_ci_u32_e32 v6, vcc_lo, 0, v6, vcc_lo
	v_cmp_gt_i32_e32 vcc_lo, 31, v7
	s_wait_alu 0xfffd
	v_cndmask_b32_e32 v8, 0x7c00, v8, vcc_lo
	v_cmp_gt_i32_e32 vcc_lo, 31, v9
	s_wait_alu 0xfffd
	v_cndmask_b32_e32 v6, 0x7c00, v6, vcc_lo
	v_cmp_eq_u32_e32 vcc_lo, 0x40f, v7
	s_wait_alu 0xfffd
	v_cndmask_b32_e32 v2, v8, v2, vcc_lo
	v_cmp_eq_u32_e32 vcc_lo, 0x40f, v9
	s_delay_alu instid0(VALU_DEP_2)
	v_and_or_b32 v2, 0x8000, v3, v2
	s_wait_alu 0xfffd
	v_cndmask_b32_e32 v4, v6, v4, vcc_lo
	v_add_co_u32 v0, vcc_lo, v0, s4
	s_wait_alu 0xfffd
	v_add_co_ci_u32_e32 v1, vcc_lo, s5, v1, vcc_lo
	v_and_b32_e32 v2, 0xffff, v2
	v_and_or_b32 v3, 0x8000, v5, v4
	s_delay_alu instid0(VALU_DEP_1)
	v_lshl_or_b32 v2, v3, 16, v2
	global_store_b32 v[0:1], v2, off
.LBB0_23:
	s_nop 0
	s_sendmsg sendmsg(MSG_DEALLOC_VGPRS)
	s_endpgm
	.section	.rodata,"a",@progbits
	.p2align	6, 0x0
	.amdhsa_kernel bluestein_single_back_len1547_dim1_half_op_CI_CI
		.amdhsa_group_segment_fixed_size 6188
		.amdhsa_private_segment_fixed_size 0
		.amdhsa_kernarg_size 104
		.amdhsa_user_sgpr_count 2
		.amdhsa_user_sgpr_dispatch_ptr 0
		.amdhsa_user_sgpr_queue_ptr 0
		.amdhsa_user_sgpr_kernarg_segment_ptr 1
		.amdhsa_user_sgpr_dispatch_id 0
		.amdhsa_user_sgpr_private_segment_size 0
		.amdhsa_wavefront_size32 1
		.amdhsa_uses_dynamic_stack 0
		.amdhsa_enable_private_segment 0
		.amdhsa_system_sgpr_workgroup_id_x 1
		.amdhsa_system_sgpr_workgroup_id_y 0
		.amdhsa_system_sgpr_workgroup_id_z 0
		.amdhsa_system_sgpr_workgroup_info 0
		.amdhsa_system_vgpr_workitem_id 0
		.amdhsa_next_free_vgpr 222
		.amdhsa_next_free_sgpr 16
		.amdhsa_reserve_vcc 1
		.amdhsa_float_round_mode_32 0
		.amdhsa_float_round_mode_16_64 0
		.amdhsa_float_denorm_mode_32 3
		.amdhsa_float_denorm_mode_16_64 3
		.amdhsa_fp16_overflow 0
		.amdhsa_workgroup_processor_mode 1
		.amdhsa_memory_ordered 1
		.amdhsa_forward_progress 0
		.amdhsa_round_robin_scheduling 0
		.amdhsa_exception_fp_ieee_invalid_op 0
		.amdhsa_exception_fp_denorm_src 0
		.amdhsa_exception_fp_ieee_div_zero 0
		.amdhsa_exception_fp_ieee_overflow 0
		.amdhsa_exception_fp_ieee_underflow 0
		.amdhsa_exception_fp_ieee_inexact 0
		.amdhsa_exception_int_div_zero 0
	.end_amdhsa_kernel
	.text
.Lfunc_end0:
	.size	bluestein_single_back_len1547_dim1_half_op_CI_CI, .Lfunc_end0-bluestein_single_back_len1547_dim1_half_op_CI_CI
                                        ; -- End function
	.section	.AMDGPU.csdata,"",@progbits
; Kernel info:
; codeLenInByte = 39812
; NumSgprs: 18
; NumVgprs: 222
; ScratchSize: 0
; MemoryBound: 0
; FloatMode: 240
; IeeeMode: 1
; LDSByteSize: 6188 bytes/workgroup (compile time only)
; SGPRBlocks: 2
; VGPRBlocks: 27
; NumSGPRsForWavesPerEU: 18
; NumVGPRsForWavesPerEU: 222
; Occupancy: 6
; WaveLimiterHint : 1
; COMPUTE_PGM_RSRC2:SCRATCH_EN: 0
; COMPUTE_PGM_RSRC2:USER_SGPR: 2
; COMPUTE_PGM_RSRC2:TRAP_HANDLER: 0
; COMPUTE_PGM_RSRC2:TGID_X_EN: 1
; COMPUTE_PGM_RSRC2:TGID_Y_EN: 0
; COMPUTE_PGM_RSRC2:TGID_Z_EN: 0
; COMPUTE_PGM_RSRC2:TIDIG_COMP_CNT: 0
	.text
	.p2alignl 7, 3214868480
	.fill 96, 4, 3214868480
	.type	__hip_cuid_ae8bf3dffe884f90,@object ; @__hip_cuid_ae8bf3dffe884f90
	.section	.bss,"aw",@nobits
	.globl	__hip_cuid_ae8bf3dffe884f90
__hip_cuid_ae8bf3dffe884f90:
	.byte	0                               ; 0x0
	.size	__hip_cuid_ae8bf3dffe884f90, 1

	.ident	"AMD clang version 19.0.0git (https://github.com/RadeonOpenCompute/llvm-project roc-6.4.0 25133 c7fe45cf4b819c5991fe208aaa96edf142730f1d)"
	.section	".note.GNU-stack","",@progbits
	.addrsig
	.addrsig_sym __hip_cuid_ae8bf3dffe884f90
	.amdgpu_metadata
---
amdhsa.kernels:
  - .args:
      - .actual_access:  read_only
        .address_space:  global
        .offset:         0
        .size:           8
        .value_kind:     global_buffer
      - .actual_access:  read_only
        .address_space:  global
        .offset:         8
        .size:           8
        .value_kind:     global_buffer
      - .actual_access:  read_only
        .address_space:  global
        .offset:         16
        .size:           8
        .value_kind:     global_buffer
      - .actual_access:  read_only
        .address_space:  global
        .offset:         24
        .size:           8
        .value_kind:     global_buffer
      - .actual_access:  read_only
        .address_space:  global
        .offset:         32
        .size:           8
        .value_kind:     global_buffer
      - .offset:         40
        .size:           8
        .value_kind:     by_value
      - .address_space:  global
        .offset:         48
        .size:           8
        .value_kind:     global_buffer
      - .address_space:  global
        .offset:         56
        .size:           8
        .value_kind:     global_buffer
      - .address_space:  global
        .offset:         64
        .size:           8
        .value_kind:     global_buffer
      - .address_space:  global
        .offset:         72
        .size:           8
        .value_kind:     global_buffer
      - .offset:         80
        .size:           4
        .value_kind:     by_value
      - .address_space:  global
        .offset:         88
        .size:           8
        .value_kind:     global_buffer
      - .address_space:  global
        .offset:         96
        .size:           8
        .value_kind:     global_buffer
    .group_segment_fixed_size: 6188
    .kernarg_segment_align: 8
    .kernarg_segment_size: 104
    .language:       OpenCL C
    .language_version:
      - 2
      - 0
    .max_flat_workgroup_size: 119
    .name:           bluestein_single_back_len1547_dim1_half_op_CI_CI
    .private_segment_fixed_size: 0
    .sgpr_count:     18
    .sgpr_spill_count: 0
    .symbol:         bluestein_single_back_len1547_dim1_half_op_CI_CI.kd
    .uniform_work_group_size: 1
    .uses_dynamic_stack: false
    .vgpr_count:     222
    .vgpr_spill_count: 0
    .wavefront_size: 32
    .workgroup_processor_mode: 1
amdhsa.target:   amdgcn-amd-amdhsa--gfx1201
amdhsa.version:
  - 1
  - 2
...

	.end_amdgpu_metadata
